;; amdgpu-corpus repo=ROCm/aiter kind=harvested arch=n/a opt=n/a

/root/src/amdgpu-assembly/repos/ROCm__aiter/hsa/gfx942/bf16gemm/bf16gemm_fp32bf16_tn_64x64_bshuffle_splitk_clean.co:	file format elf64-amdgpu

Disassembly of section .text:

0000000000002a00 <_ZN5aiter48bf16gemm_fp32bf16_tn_64x64_bshuffle_splitk_cleanE>:
	s_mov_b32 s53, s4                                          // 000000002A00: BEB50004
	s_and_b32 s1, s1, 0xffff                                   // 000000002A04: 8601FF01 0000FFFF
	s_load_dword s25, s[0:1], 0xe0                             // 000000002A0C: C0020640 000000E0
	s_load_dword s26, s[0:1], 0xf0                             // 000000002A14: C0020680 000000F0
	s_load_dword s27, s[0:1], 0x100                            // 000000002A1C: C00206C0 00000100
	s_load_dword s28, s[0:1], 0xa0                             // 000000002A24: C0020700 000000A0
	s_load_dword s29, s[0:1], 0xc0                             // 000000002A2C: C0020740 000000C0
	s_load_dword s30, s[0:1], 0x80                             // 000000002A34: C0020780 00000080
	s_load_dword s20, s[0:1], 0x40                             // 000000002A3C: C0020500 00000040
	s_load_dword s21, s[0:1], 0x50                             // 000000002A44: C0020540 00000050
	s_load_dwordx2 s[4:5], s[0:1], 0x20                        // 000000002A4C: C0060100 00000020
	s_load_dwordx2 s[8:9], s[0:1], 0x30                        // 000000002A54: C0060200 00000030
	s_load_dwordx2 s[12:13], s[0:1], 0x10                      // 000000002A5C: C0060300 00000010
	s_load_dwordx2 s[16:17], s[0:1], 0x0                       // 000000002A64: C0060400 00000000
	s_load_dword s52, s[0:1], 0x110                            // 000000002A6C: C0020D00 00000110
	s_load_dword s54, s[0:1], 0x120                            // 000000002A74: C0020D80 00000120
	s_load_dwordx2 s[36:37], s[0:1], 0x130                     // 000000002A7C: C0060900 00000130
	s_load_dword s61, s[0:1], 0x140                            // 000000002A84: C0020F40 00000140
	s_load_dwordx2 s[40:41], s[0:1], 0x150                     // 000000002A8C: C0060A00 00000150
	v_lshrrev_b32_e32 v1, 10, v0                               // 000000002A94: 2002008A
	v_lshrrev_b32_e32 v2, 10, v1                               // 000000002A98: 2004028A
	v_and_b32_e32 v2, 0x3ff, v2                                // 000000002A9C: 260404FF 000003FF
	v_and_b32_e32 v1, 0x3ff, v1                                // 000000002AA4: 260202FF 000003FF
	v_and_b32_e32 v0, 0x3ff, v0                                // 000000002AAC: 260000FF 000003FF
	v_lshrrev_b32_e32 v3, 6, v0                                // 000000002AB4: 20060086
	v_and_b32_e32 v0, 63, v0                                   // 000000002AB8: 260000BF
	s_mov_b32 s22, s2                                          // 000000002ABC: BE960002
	s_mov_b32 s23, s3                                          // 000000002AC0: BE970003
	v_readfirstlane_b32 s24, v3                                // 000000002AC4: 7E300503
	s_waitcnt lgkmcnt(0)                                       // 000000002AC8: BF8CC07F
	s_mov_b32 s18, -16                                         // 000000002ACC: BE9200D0
	s_mov_b32 s14, -16                                         // 000000002AD0: BE8E00D0
	s_mov_b32 s10, -16                                         // 000000002AD4: BE8A00D0
	s_mov_b32 s6, -16                                          // 000000002AD8: BE8600D0
	s_mov_b32 s38, -16                                         // 000000002ADC: BEA600D0
	s_mov_b32 s19, 0x20000                                     // 000000002AE0: BE9300FF 00020000
	s_mov_b32 s15, 0x20000                                     // 000000002AE8: BE8F00FF 00020000
	s_mov_b32 s11, 0x20000                                     // 000000002AF0: BE8B00FF 00020000
	s_mov_b32 s7, 0x20000                                      // 000000002AF8: BE8700FF 00020000
	s_mov_b32 s39, 0x20000                                     // 000000002B00: BEA700FF 00020000
	s_and_b32 s17, s17, 0xffff                                 // 000000002B08: 8611FF11 0000FFFF
	s_and_b32 s13, s13, 0xffff                                 // 000000002B10: 860DFF0D 0000FFFF
	s_and_b32 s9, s9, 0xffff                                   // 000000002B18: 8609FF09 0000FFFF
	s_and_b32 s5, s5, 0xffff                                   // 000000002B20: 8605FF05 0000FFFF
	s_and_b32 s37, s37, 0xffff                                 // 000000002B28: 8625FF25 0000FFFF
	s_or_b32 s17, s17, 0x40000                                 // 000000002B30: 8711FF11 00040000
	s_or_b32 s13, s13, 0x40000                                 // 000000002B38: 870DFF0D 00040000
	s_or_b32 s9, s9, 0x40000                                   // 000000002B40: 8709FF09 00040000
	s_or_b32 s5, s5, 0x40000                                   // 000000002B48: 8705FF05 00040000
	s_or_b32 s37, s37, 0x40000                                 // 000000002B50: 8725FF25 00040000
	s_add_u32 s31, s26, 63                                     // 000000002B58: 801FBF1A
	s_lshr_b32 s31, s31, 6                                     // 000000002B5C: 8F1F861F
	s_mul_i32 s62, s23, s31                                    // 000000002B60: 923E1F17
	s_add_u32 s62, s62, s22                                    // 000000002B64: 803E163E
	s_lshl_b32 s62, s62, 2                                     // 000000002B68: 8E3E823E
	s_cmp_eq_u32 s53, 0                                        // 000000002B6C: BF068035
	s_cbranch_scc0 label_005F                                  // 000000002B70: BF840002
	s_load_dword s63, s[40:41], s62 glc                        // 000000002B74: C0010FD4 0000003E

0000000000002b7c <label_005F>:
	s_mov_b32 s35, 0x7060302                                   // 000000002B7C: BEA300FF 07060302
	v_mov_b32_e32 v9, 0xffff0000                               // 000000002B84: 7E1202FF FFFF0000
	v_mov_b32_e32 v10, 0x7fff0000                              // 000000002B8C: 7E1402FF 7FFF0000
	v_mov_b32_e32 v11, 0x7fff                                  // 000000002B94: 7E1602FF 00007FFF
	s_mul_i32 s31, s30, s25                                    // 000000002B9C: 921F191E
	s_mov_b32 s18, s31                                         // 000000002BA0: BE92001F
	s_cmp_lt_u32 s54, 1                                        // 000000002BA4: BF0A8136
	s_cbranch_scc0 label_0087                                  // 000000002BA8: BF84001C
	v_and_b32_e64 v12, v0, 15                                  // 000000002BAC: D113000C 00011F00
	v_mul_lo_u32 v12, v12, s30                                 // 000000002BB4: D285000C 00003D0C
	v_lshrrev_b32_e32 v4, 4, v0                                // 000000002BBC: 20080084
	v_mul_i32_i24_e32 v4, 16, v4                               // 000000002BC0: 0C080890
	v_add_u32_e32 v12, v4, v12                                 // 000000002BC4: 68181904
	s_mul_i32 s31, s23, 64                                     // 000000002BC8: 921FC017
	s_mul_i32 s31, s31, s30                                    // 000000002BCC: 921F1E1F
	v_add_u32_e32 v12, s31, v12                                // 000000002BD0: 6818181F
	s_mul_i32 s31, s22, 64                                     // 000000002BD4: 921FC016
	s_mul_i32 s31, s31, 4                                      // 000000002BD8: 921F841F
	v_add_u32_e32 v12, s31, v12                                // 000000002BDC: 6818181F
	s_mul_i32 s31, 64, s24                                     // 000000002BE0: 921F18C0
	v_add_u32_e32 v12, s31, v12                                // 000000002BE4: 6818181F
	s_mul_i32 s31, 16, s30                                     // 000000002BE8: 921F1E90
	v_add_u32_e32 v13, s31, v12                                // 000000002BEC: 681A181F
	v_add_u32_e32 v14, s31, v13                                // 000000002BF0: 681C1A1F
	v_add_u32_e32 v15, s31, v14                                // 000000002BF4: 681E1C1F
	s_mul_i32 s31, s23, 64                                     // 000000002BF8: 921FC017
	s_add_i32 s31, s31, s24                                    // 000000002BFC: 811F181F
	s_mul_i32 s31, s31, s30                                    // 000000002C00: 921F1E1F
	s_mul_i32 s32, s22, 64                                     // 000000002C04: 9220C016
	s_mul_i32 s32, s32, 4                                      // 000000002C08: 92208420
	s_add_i32 s31, s31, s32                                    // 000000002C0C: 811F201F
	v_lshlrev_b32_e32 v16, 2, v0                               // 000000002C10: 24200082
	v_add_u32_e32 v16, s31, v16                                // 000000002C14: 6820201F
	s_branch label_00A8                                        // 000000002C18: BF820021

0000000000002c1c <label_0087>:
	v_and_b32_e64 v12, v0, 15                                  // 000000002C1C: D113000C 00011F00
	v_mul_lo_u32 v12, v12, s30                                 // 000000002C24: D285000C 00003D0C
	v_lshrrev_b32_e32 v4, 4, v0                                // 000000002C2C: 20080084
	v_mul_i32_i24_e32 v4, 8, v4                                // 000000002C30: 0C080888
	v_add_u32_e32 v12, v4, v12                                 // 000000002C34: 68181904
	s_mul_i32 s31, s23, 64                                     // 000000002C38: 921FC017
	s_mul_i32 s31, s31, s30                                    // 000000002C3C: 921F1E1F
	v_add_u32_e32 v12, s31, v12                                // 000000002C40: 6818181F
	s_mul_i32 s31, s22, 64                                     // 000000002C44: 921FC016
	s_mul_i32 s31, s31, 2                                      // 000000002C48: 921F821F
	v_add_u32_e32 v12, s31, v12                                // 000000002C4C: 6818181F
	s_mul_i32 s31, 32, s24                                     // 000000002C50: 921F18A0
	v_add_u32_e32 v12, s31, v12                                // 000000002C54: 6818181F
	s_mul_i32 s31, 16, s30                                     // 000000002C58: 921F1E90
	v_add_u32_e32 v13, s31, v12                                // 000000002C5C: 681A181F
	v_add_u32_e32 v14, s31, v13                                // 000000002C60: 681C1A1F
	v_add_u32_e32 v15, s31, v14                                // 000000002C64: 681E1C1F
	s_mul_i32 s31, s23, 64                                     // 000000002C68: 921FC017
	s_add_i32 s31, s31, s24                                    // 000000002C6C: 811F181F
	s_mul_i32 s31, s31, s30                                    // 000000002C70: 921F1E1F
	s_mul_i32 s32, s22, 64                                     // 000000002C74: 9220C016
	s_mul_i32 s32, s32, 2                                      // 000000002C78: 92208220
	s_add_i32 s31, s31, s32                                    // 000000002C7C: 811F201F
	v_lshrrev_b32_e32 v4, 5, v0                                // 000000002C80: 20080085
	s_mul_i32 s32, s30, 4                                      // 000000002C84: 9220841E
	v_mul_lo_u32 v4, v4, s32                                   // 000000002C88: D2850004 00004104
	v_and_b32_e32 v5, 31, v0                                   // 000000002C90: 260A009F
	v_lshlrev_b32_e32 v5, 2, v5                                // 000000002C94: 240A0A82
	v_add_u32_e32 v16, v4, v5                                  // 000000002C98: 68200B04
	v_add_u32_e32 v16, s31, v16                                // 000000002C9C: 6820201F

0000000000002ca0 <label_00A8>:
	s_cmp_eq_u32 s53, 0                                        // 000000002CA0: BF068035
	s_cbranch_scc0 label_00C8                                  // 000000002CA4: BF84001E
	s_mov_b32 s31, 0                                           // 000000002CA8: BE9F0080

0000000000002cac <label_00AB>:
	s_waitcnt lgkmcnt(0)                                       // 000000002CAC: BF8CC07F
	s_cmp_eq_u32 s63, s31                                      // 000000002CB0: BF061F3F
	s_cbranch_scc1 label_00B1                                  // 000000002CB4: BF850003
	s_load_dword s63, s[40:41], s62 glc                        // 000000002CB8: C0010FD4 0000003E
	s_branch label_00AB                                        // 000000002CC0: BF82FFFA

0000000000002cc4 <label_00B1>:
	v_mov_b32_e32 v48, 0                                       // 000000002CC4: 7E600280
	v_mov_b32_e32 v49, 0                                       // 000000002CC8: 7E620280
	v_mov_b32_e32 v50, 0                                       // 000000002CCC: 7E640280
	v_mov_b32_e32 v51, 0                                       // 000000002CD0: 7E660280
	s_cmp_lt_u32 s54, 1                                        // 000000002CD4: BF0A8136
	s_cbranch_scc0 label_00C0                                  // 000000002CD8: BF840009
	buffer_store_dwordx4 v[48:51], v12, s[16:19], 0 offen sc0 nt sc1// 000000002CDC: E07ED000 8004300C
	buffer_store_dwordx4 v[48:51], v13, s[16:19], 0 offen sc0 nt sc1// 000000002CE4: E07ED000 8004300D
	buffer_store_dwordx4 v[48:51], v14, s[16:19], 0 offen sc0 nt sc1// 000000002CEC: E07ED000 8004300E
	buffer_store_dwordx4 v[48:51], v15, s[16:19], 0 offen sc0 nt sc1// 000000002CF4: E07ED000 8004300F
	s_branch label_00C8                                        // 000000002CFC: BF820008

0000000000002d00 <label_00C0>:
	buffer_store_dwordx2 v[48:49], v12, s[16:19], 0 offen sc0 nt sc1// 000000002D00: E076D000 8004300C
	buffer_store_dwordx2 v[48:49], v13, s[16:19], 0 offen sc0 nt sc1// 000000002D08: E076D000 8004300D
	buffer_store_dwordx2 v[48:49], v14, s[16:19], 0 offen sc0 nt sc1// 000000002D10: E076D000 8004300E
	buffer_store_dwordx2 v[48:49], v15, s[16:19], 0 offen sc0 nt sc1// 000000002D18: E076D000 8004300F

0000000000002d20 <label_00C8>:
	s_mul_i32 s31, s28, s25                                    // 000000002D20: 921F191C
	s_mov_b32 s6, s31                                          // 000000002D24: BE86001F
	s_mov_b32 s44, 0x80                                        // 000000002D28: BEAC00FF 00000080
	v_lshrrev_b32_e32 v4, 5, v0                                // 000000002D30: 20080085
	v_lshlrev_b32_e32 v4, 2, v4                                // 000000002D34: 24080882
	v_mul_lo_u32 v17, v4, s28                                  // 000000002D38: D2850011 00003904
	v_and_b32_e32 v4, 31, v0                                   // 000000002D40: 2608009F
	v_lshlrev_b32_e32 v4, 2, v4                                // 000000002D44: 24080882
	v_add_u32_e32 v17, v17, v4                                 // 000000002D48: 68220911
	s_mul_i32 s31, 8, s28                                      // 000000002D4C: 921F1C88
	v_add_u32_e64 v18, v17, s31                                // 000000002D50: D1340012 00003F11
	v_add_u32_e64 v19, v18, s31                                // 000000002D58: D1340013 00003F12
	v_add_u32_e64 v20, v19, s31                                // 000000002D60: D1340014 00003F13
	v_add_u32_e64 v21, v20, s31                                // 000000002D68: D1340015 00003F14
	v_add_u32_e64 v22, v21, s31                                // 000000002D70: D1340016 00003F15
	v_add_u32_e64 v23, v22, s31                                // 000000002D78: D1340017 00003F16
	v_add_u32_e64 v24, v23, s31                                // 000000002D80: D1340018 00003F17
	s_mul_i32 s31, s23, 64                                     // 000000002D88: 921FC017
	s_add_u32 s31, s31, s24                                    // 000000002D8C: 801F181F
	s_mul_i32 s32, s31, s28                                    // 000000002D90: 92201C1F
	v_add_u32_e64 v17, v17, s32                                // 000000002D94: D1340011 00004111
	v_add_u32_e64 v18, v18, s32                                // 000000002D9C: D1340012 00004112
	v_add_u32_e64 v19, v19, s32                                // 000000002DA4: D1340013 00004113
	v_add_u32_e64 v20, v20, s32                                // 000000002DAC: D1340014 00004114
	v_add_u32_e64 v21, v21, s32                                // 000000002DB4: D1340015 00004115
	v_add_u32_e64 v22, v22, s32                                // 000000002DBC: D1340016 00004116
	v_add_u32_e64 v23, v23, s32                                // 000000002DC4: D1340017 00004117
	v_add_u32_e64 v24, v24, s32                                // 000000002DCC: D1340018 00004118
	v_lshrrev_b32_e32 v4, 4, v0                                // 000000002DD4: 20080084
	v_lshlrev_b32_e32 v5, 2, v4                                // 000000002DD8: 240A0882
	v_and_b32_e32 v4, 15, v0                                   // 000000002DDC: 2608008F
	v_lshrrev_b32_e32 v6, 2, v4                                // 000000002DE0: 200C0882
	v_lshlrev_b32_e32 v6, 5, v6                                // 000000002DE4: 240C0C85
	v_add_u32_e32 v5, v6, v5                                   // 000000002DE8: 680A0B06
	v_and_b32_e32 v4, 3, v0                                    // 000000002DEC: 26080083
	v_mul_u32_u24_e32 v6, 0x208, v4                            // 000000002DF0: 100C08FF 00000208
	v_add_u32_e32 v5, v6, v5                                   // 000000002DF8: 680A0B06
	v_lshlrev_b32_e32 v25, 2, v5                               // 000000002DFC: 24320A82
	s_mul_i32 s31, s24, 0x820                                  // 000000002E00: 921FFF18 00000820
	s_add_u32 s46, 0, s31                                      // 000000002E08: 802E1F80
	s_add_u32 s47, 0x2080, s46                                 // 000000002E0C: 802F2EFF 00002080
	s_add_u32 s48, 0x2080, s47                                 // 000000002E14: 80302FFF 00002080
	s_mul_i32 s31, s29, s26                                    // 000000002E1C: 921F1A1D
	s_mov_b32 s10, s31                                         // 000000002E20: BE8A001F
	s_mov_b32 s45, 0x800                                       // 000000002E24: BEAD00FF 00000800
	v_lshlrev_b32_e32 v26, 4, v0                               // 000000002E2C: 24340084
	s_mov_b32 s31, 0x400                                       // 000000002E30: BE9F00FF 00000400
	v_add_u32_e64 v27, v26, s31                                // 000000002E38: D134001B 00003F1A
	s_mul_i32 s31, s22, 64                                     // 000000002E40: 921FC016
	s_mul_i32 s32, 16, s24                                     // 000000002E44: 92201890
	s_add_u32 s31, s31, s32                                    // 000000002E48: 801F201F
	s_mul_i32 s32, s31, s29                                    // 000000002E4C: 92201D1F
	v_add_u32_e64 v26, v26, s32                                // 000000002E50: D134001A 0000411A
	v_add_u32_e64 v27, v27, s32                                // 000000002E58: D134001B 0000411B
	s_cmp_le_u32 s52, 1                                        // 000000002E60: BF0B8134
	s_cbranch_scc1 label_0158                                  // 000000002E64: BF85003E
	s_lshr_b32 s32, s27, 6                                     // 000000002E68: 8F20861B
	v_cvt_f32_u32_e32 v4, s52                                  // 000000002E6C: 7E080C34
	s_sub_i32 s31, 0, s52                                      // 000000002E70: 819F3480
	v_rcp_iflag_f32_e32 v4, v4                                 // 000000002E74: 7E084704
	s_nop 0                                                    // 000000002E78: BF800000
	v_mul_f32_e32 v4, 0x4f7ffffe, v4                           // 000000002E7C: 0A0808FF 4F7FFFFE
	v_cvt_u32_f32_e32 v4, v4                                   // 000000002E84: 7E080F04
	v_mul_lo_u32 v5, s31, v4                                   // 000000002E88: D2850005 0002081F
	v_mul_hi_u32 v5, v4, v5                                    // 000000002E90: D2860005 00020B04
	v_add_u32_e32 v4, v4, v5                                   // 000000002E98: 68080B04
	v_mul_hi_u32 v4, s32, v4                                   // 000000002E9C: D2860004 00020820
	v_mul_lo_u32 v5, v4, s52                                   // 000000002EA4: D2850005 00006904
	v_sub_u32_e32 v7, s32, v5                                  // 000000002EAC: 6A0E0A20
	v_add_u32_e32 v6, 1, v4                                    // 000000002EB0: 680C0881
	v_cmp_le_u32_e32 vcc, s52, v7                              // 000000002EB4: 7D960E34
	v_subrev_u32_e32 v5, s52, v7                               // 000000002EB8: 6C0A0E34
	s_nop 0                                                    // 000000002EBC: BF800000
	v_cndmask_b32_e32 v4, v4, v6, vcc                          // 000000002EC0: 00080D04
	v_cndmask_b32_e32 v7, v7, v5, vcc                          // 000000002EC4: 000E0B07
	v_add_u32_e32 v5, 1, v4                                    // 000000002EC8: 680A0881
	v_cmp_le_u32_e32 vcc, s52, v7                              // 000000002ECC: 7D960E34
	s_nop 1                                                    // 000000002ED0: BF800001
	v_cndmask_b32_e32 v7, v4, v5, vcc                          // 000000002ED4: 000E0B04
	s_nop 3                                                    // 000000002ED8: BF800003
	v_readfirstlane_b32 s32, v7                                // 000000002EDC: 7E400507
	s_nop 3                                                    // 000000002EE0: BF800003
	s_mul_i32 s32, s32, 64                                     // 000000002EE4: 9220C020
	s_mul_i32 s31, s53, s32                                    // 000000002EE8: 921F2035
	s_sub_i32 s56, s27, s31                                    // 000000002EEC: 81B81F1B
	s_sub_i32 s31, s52, 1                                      // 000000002EF0: 819F8134
	s_cmp_eq_i32 s53, s31                                      // 000000002EF4: BF001F35
	s_cselect_b32 s27, s56, s32                                // 000000002EF8: 851B2038
	s_mul_i32 s31, s32, 2                                      // 000000002EFC: 921F8220
	s_mul_i32 s31, s31, s53                                    // 000000002F00: 921F351F
	v_add_u32_e64 v17, v17, s31                                // 000000002F04: D1340011 00003F11
	v_add_u32_e64 v18, v18, s31                                // 000000002F0C: D1340012 00003F12
	v_add_u32_e64 v19, v19, s31                                // 000000002F14: D1340013 00003F13
	v_add_u32_e64 v20, v20, s31                                // 000000002F1C: D1340014 00003F14
	v_add_u32_e64 v21, v21, s31                                // 000000002F24: D1340015 00003F15
	v_add_u32_e64 v22, v22, s31                                // 000000002F2C: D1340016 00003F16
	v_add_u32_e64 v23, v23, s31                                // 000000002F34: D1340017 00003F17
	v_add_u32_e64 v24, v24, s31                                // 000000002F3C: D1340018 00003F18
	s_mul_i32 s31, s32, 2                                      // 000000002F44: 921F8220
	s_mul_i32 s31, s31, s53                                    // 000000002F48: 921F351F
	s_mul_i32 s31, s31, 16                                     // 000000002F4C: 921F901F
	v_add_u32_e64 v26, v26, s31                                // 000000002F50: D134001A 00003F1A
	v_add_u32_e64 v27, v27, s31                                // 000000002F58: D134001B 00003F1B

0000000000002f60 <label_0158>:
	s_cmp_eq_u32 s61, 1                                        // 000000002F60: BF06813D
	s_cbranch_scc0 label_018B                                  // 000000002F64: BF840031
	s_cmp_eq_i32 s53, 0                                        // 000000002F68: BF008035
	s_cbranch_scc0 label_018B                                  // 000000002F6C: BF84002F
	s_mul_i32 s31, 2, s26                                      // 000000002F70: 921F1A82
	s_mov_b32 s38, s31                                         // 000000002F74: BEA6001F
	v_lshrrev_b32_e32 v4, 4, v0                                // 000000002F78: 20080084
	v_mul_i32_i24_e32 v56, 8, v4                               // 000000002F7C: 0C700888
	s_mul_i32 s31, 32, s24                                     // 000000002F80: 921F18A0
	v_add_u32_e32 v56, s31, v56                                // 000000002F84: 6870701F
	s_mul_i32 s32, s22, 64                                     // 000000002F88: 9220C016
	s_mul_i32 s32, s32, 2                                      // 000000002F8C: 92208220
	v_add_u32_e32 v56, s32, v56                                // 000000002F90: 68707020
	v_mov_b32_e32 v58, 0                                       // 000000002F94: 7E740280
	v_mov_b32_e32 v59, 0                                       // 000000002F98: 7E760280
	buffer_load_dwordx2 v[58:59], v56, s[36:39], 0 offen       // 000000002F9C: E0541000 80093A38
	s_waitcnt vmcnt(0)                                         // 000000002FA4: BF8C0F70
	v_mov_b32_e32 v4, 0xffff0000                               // 000000002FA8: 7E0802FF FFFF0000
	v_and_b32_e32 v4, v58, v4                                  // 000000002FB0: 2608093A
	v_mov_b32_e32 v5, 0xffff                                   // 000000002FB4: 7E0A02FF 0000FFFF
	v_and_b32_e32 v5, v58, v5                                  // 000000002FBC: 260A0B3A
	v_mov_b32_e32 v61, v4                                      // 000000002FC0: 7E7A0304
	v_lshlrev_b32_e32 v60, 16, v5                              // 000000002FC4: 24780A90
	v_mov_b32_e32 v4, 0xffff0000                               // 000000002FC8: 7E0802FF FFFF0000
	v_and_b32_e32 v4, v59, v4                                  // 000000002FD0: 2608093B
	v_mov_b32_e32 v5, 0xffff                                   // 000000002FD4: 7E0A02FF 0000FFFF
	v_and_b32_e32 v5, v59, v5                                  // 000000002FDC: 260A0B3B
	v_mov_b32_e32 v63, v4                                      // 000000002FE0: 7E7E0304
	v_lshlrev_b32_e32 v62, 16, v5                              // 000000002FE4: 247C0A90
	v_mov_b32_e32 v32, v60                                     // 000000002FE8: 7E40033C
	v_mov_b32_e32 v33, v61                                     // 000000002FEC: 7E42033D
	v_mov_b32_e32 v34, v62                                     // 000000002FF0: 7E44033E
	v_mov_b32_e32 v35, v63                                     // 000000002FF4: 7E46033F
	v_mov_b32_e32 v36, v60                                     // 000000002FF8: 7E48033C
	v_mov_b32_e32 v37, v61                                     // 000000002FFC: 7E4A033D
	v_mov_b32_e32 v38, v62                                     // 000000003000: 7E4C033E
	v_mov_b32_e32 v39, v63                                     // 000000003004: 7E4E033F
	v_mov_b32_e32 v40, v60                                     // 000000003008: 7E50033C
	v_mov_b32_e32 v41, v61                                     // 00000000300C: 7E52033D
	v_mov_b32_e32 v42, v62                                     // 000000003010: 7E54033E
	v_mov_b32_e32 v43, v63                                     // 000000003014: 7E56033F
	v_mov_b32_e32 v44, v60                                     // 000000003018: 7E58033C
	v_mov_b32_e32 v45, v61                                     // 00000000301C: 7E5A033D
	v_mov_b32_e32 v46, v62                                     // 000000003020: 7E5C033E
	v_mov_b32_e32 v47, v63                                     // 000000003024: 7E5E033F
	s_branch label_019B                                        // 000000003028: BF820010

000000000000302c <label_018B>:
	v_mov_b32_e32 v32, 0                                       // 00000000302C: 7E400280
	v_mov_b32_e32 v33, 0                                       // 000000003030: 7E420280
	v_mov_b32_e32 v34, 0                                       // 000000003034: 7E440280
	v_mov_b32_e32 v35, 0                                       // 000000003038: 7E460280
	v_mov_b32_e32 v36, 0                                       // 00000000303C: 7E480280
	v_mov_b32_e32 v37, 0                                       // 000000003040: 7E4A0280
	v_mov_b32_e32 v38, 0                                       // 000000003044: 7E4C0280
	v_mov_b32_e32 v39, 0                                       // 000000003048: 7E4E0280
	v_mov_b32_e32 v40, 0                                       // 00000000304C: 7E500280
	v_mov_b32_e32 v41, 0                                       // 000000003050: 7E520280
	v_mov_b32_e32 v42, 0                                       // 000000003054: 7E540280
	v_mov_b32_e32 v43, 0                                       // 000000003058: 7E560280
	v_mov_b32_e32 v44, 0                                       // 00000000305C: 7E580280
	v_mov_b32_e32 v45, 0                                       // 000000003060: 7E5A0280
	v_mov_b32_e32 v46, 0                                       // 000000003064: 7E5C0280
	v_mov_b32_e32 v47, 0                                       // 000000003068: 7E5E0280

000000000000306c <label_019B>:
	s_add_u32 m0, 0, s46                                       // 00000000306C: 807C2E80
	buffer_load_dword v17, s[4:7], 0 offen lds                 // 000000003070: E0511000 80010011
	s_add_u32 m0, 0x100, s46                                   // 000000003078: 807C2EFF 00000100
	buffer_load_dword v18, s[4:7], 0 offen lds                 // 000000003080: E0511000 80010012
	s_add_u32 m0, 0x200, s46                                   // 000000003088: 807C2EFF 00000200
	;; [unrolled: 2-line block ×3, first 2 shown]
	buffer_load_dword v20, s[4:7], 0 offen lds                 // 0000000030A0: E0511000 80010014
	s_add_u32 m0, 0x400, s46                                   // 0000000030A8: 807C2EFF 00000400
	buffer_load_dword v21, s[4:7], 0 offen lds                 // 0000000030B0: E0511000 80010015
	s_add_u32 m0, 0x500, s46                                   // 0000000030B8: 807C2EFF 00000500
	buffer_load_dword v22, s[4:7], 0 offen lds                 // 0000000030C0: E0511000 80010016
	s_add_u32 m0, 0x600, s46                                   // 0000000030C8: 807C2EFF 00000600
	buffer_load_dword v23, s[4:7], 0 offen lds                 // 0000000030D0: E0511000 80010017
	s_add_u32 m0, 0x700, s46                                   // 0000000030D8: 807C2EFF 00000700
	buffer_load_dword v24, s[4:7], 0 offen lds                 // 0000000030E0: E0511000 80010018
	s_add_u32 s4, s44, s4                                      // 0000000030E8: 8004042C
	s_addc_u32 s5, 0, s5                                       // 0000000030EC: 82050580
	s_sub_u32 s6, s6, s44                                      // 0000000030F0: 80862C06
	buffer_load_dwordx4 a[64:67], v26, s[8:11], 0 offen        // 0000000030F4: E05C1000 8082401A
	buffer_load_dwordx4 a[68:71], v27, s[8:11], 0 offen        // 0000000030FC: E05C1000 8082441B
	s_add_u32 s8, s45, s8                                      // 000000003104: 8008082D
	s_addc_u32 s9, 0, s9                                       // 000000003108: 82090980
	s_sub_u32 s10, s10, s45                                    // 00000000310C: 808A2D0A
	s_add_u32 m0, 0, s47                                       // 000000003110: 807C2F80
	buffer_load_dword v17, s[4:7], 0 offen lds                 // 000000003114: E0511000 80010011
	s_add_u32 m0, 0x100, s47                                   // 00000000311C: 807C2FFF 00000100
	buffer_load_dword v18, s[4:7], 0 offen lds                 // 000000003124: E0511000 80010012
	s_add_u32 m0, 0x200, s47                                   // 00000000312C: 807C2FFF 00000200
	buffer_load_dword v19, s[4:7], 0 offen lds                 // 000000003134: E0511000 80010013
	s_add_u32 m0, 0x300, s47                                   // 00000000313C: 807C2FFF 00000300
	buffer_load_dword v20, s[4:7], 0 offen lds                 // 000000003144: E0511000 80010014
	s_add_u32 m0, 0x400, s47                                   // 00000000314C: 807C2FFF 00000400
	buffer_load_dword v21, s[4:7], 0 offen lds                 // 000000003154: E0511000 80010015
	s_add_u32 m0, 0x500, s47                                   // 00000000315C: 807C2FFF 00000500
	buffer_load_dword v22, s[4:7], 0 offen lds                 // 000000003164: E0511000 80010016
	s_add_u32 m0, 0x600, s47                                   // 00000000316C: 807C2FFF 00000600
	buffer_load_dword v23, s[4:7], 0 offen lds                 // 000000003174: E0511000 80010017
	s_add_u32 m0, 0x700, s47                                   // 00000000317C: 807C2FFF 00000700
	buffer_load_dword v24, s[4:7], 0 offen lds                 // 000000003184: E0511000 80010018
	s_add_u32 s4, s44, s4                                      // 00000000318C: 8004042C
	s_addc_u32 s5, 0, s5                                       // 000000003190: 82050580
	s_sub_u32 s6, s6, s44                                      // 000000003194: 80862C06
	buffer_load_dwordx4 a[72:75], v26, s[8:11], 0 offen        // 000000003198: E05C1000 8082481A
	buffer_load_dwordx4 a[76:79], v27, s[8:11], 0 offen        // 0000000031A0: E05C1000 80824C1B
	s_add_u32 s8, s45, s8                                      // 0000000031A8: 8008082D
	s_addc_u32 s9, 0, s9                                       // 0000000031AC: 82090980
	s_sub_u32 s10, s10, s45                                    // 0000000031B0: 808A2D0A
	s_add_u32 m0, 0, s48                                       // 0000000031B4: 807C3080
	buffer_load_dword v17, s[4:7], 0 offen lds                 // 0000000031B8: E0511000 80010011
	s_add_u32 m0, 0x100, s48                                   // 0000000031C0: 807C30FF 00000100
	buffer_load_dword v18, s[4:7], 0 offen lds                 // 0000000031C8: E0511000 80010012
	s_add_u32 m0, 0x200, s48                                   // 0000000031D0: 807C30FF 00000200
	buffer_load_dword v19, s[4:7], 0 offen lds                 // 0000000031D8: E0511000 80010013
	s_add_u32 m0, 0x300, s48                                   // 0000000031E0: 807C30FF 00000300
	buffer_load_dword v20, s[4:7], 0 offen lds                 // 0000000031E8: E0511000 80010014
	s_add_u32 m0, 0x400, s48                                   // 0000000031F0: 807C30FF 00000400
	buffer_load_dword v21, s[4:7], 0 offen lds                 // 0000000031F8: E0511000 80010015
	s_add_u32 m0, 0x500, s48                                   // 000000003200: 807C30FF 00000500
	buffer_load_dword v22, s[4:7], 0 offen lds                 // 000000003208: E0511000 80010016
	s_add_u32 m0, 0x600, s48                                   // 000000003210: 807C30FF 00000600
	buffer_load_dword v23, s[4:7], 0 offen lds                 // 000000003218: E0511000 80010017
	;; [unrolled: 2-line block ×3, first 2 shown]
	s_add_u32 s4, s44, s4                                      // 000000003230: 8004042C
	s_addc_u32 s5, 0, s5                                       // 000000003234: 82050580
	s_sub_u32 s6, s6, s44                                      // 000000003238: 80862C06
	s_mov_b32 s34, s27                                         // 00000000323C: BEA2001B
	s_mov_b32 s33, 0                                           // 000000003240: BEA10080
	s_mul_i32 s31, s23, 64                                     // 000000003244: 921FC017
	s_sub_i32 s55, s25, s31                                    // 000000003248: 81B71F19
	s_waitcnt vmcnt(20)                                        // 00000000324C: BF8C4F74
	s_barrier                                                  // 000000003250: BF8A0000
	s_or_b32 s31, s53, s24                                     // 000000003254: 871F1835
	s_cmp_eq_u32 s31, 0                                        // 000000003258: BF06801F
	s_cbranch_scc0 label_021A                                  // 00000000325C: BF840002
	s_store_dword s52, s[40:41], s62 glc                       // 000000003260: C0410D14 0000003E

0000000000003268 <label_021A>:
	ds_read_b128 a[0:3], v25                                   // 000000003268: DBFE0000 00000019
	ds_read_b128 a[4:7], v25 offset:64                         // 000000003270: DBFE0040 04000019
	ds_read_b128 a[8:11], v25 offset:512                       // 000000003278: DBFE0200 08000019
	ds_read_b128 a[12:15], v25 offset:576                      // 000000003280: DBFE0240 0C000019
	ds_read_b128 a[16:19], v25 offset:1024                     // 000000003288: DBFE0400 10000019
	ds_read_b128 a[20:23], v25 offset:1088                     // 000000003290: DBFE0440 14000019
	ds_read_b128 a[24:27], v25 offset:1536                     // 000000003298: DBFE0600 18000019
	ds_read_b128 a[28:31], v25 offset:1600                     // 0000000032A0: DBFE0640 1C000019
	s_cmp_lt_i32 s24, 2                                        // 0000000032A8: BF048218
	s_cbranch_scc0 label_0485                                  // 0000000032AC: BF840259

00000000000032b0 <label_022C>:
	s_waitcnt vmcnt(10) lgkmcnt(0)                             // 0000000032B0: BF8C007A
	s_barrier                                                  // 0000000032B4: BF8A0000
	v_mfma_f32_16x16x16_bf16 v[32:35], a[64:65], a[0:1], v[32:35]// 0000000032B8: D3E10020 1C820140
	s_add_u32 m0, 0, s46                                       // 0000000032C0: 807C2E80
	buffer_load_dword v17, s[4:7], 0 offen lds                 // 0000000032C4: E0511000 80010011
	v_mfma_f32_16x16x16_bf16 v[32:35], a[66:67], a[2:3], v[32:35]// 0000000032CC: D3E10020 1C820542
	s_add_u32 m0, 0x100, s46                                   // 0000000032D4: 807C2EFF 00000100
	buffer_load_dword v18, s[4:7], 0 offen lds                 // 0000000032DC: E0511000 80010012
	ds_read_b128 a[32:35], v25 offset:8320                     // 0000000032E4: DBFE2080 20000019
	ds_read_b128 a[36:39], v25 offset:8384                     // 0000000032EC: DBFE20C0 24000019
	v_mfma_f32_16x16x16_bf16 v[32:35], a[68:69], a[4:5], v[32:35]// 0000000032F4: D3E10020 1C820944
	s_add_u32 m0, 0x200, s46                                   // 0000000032FC: 807C2EFF 00000200
	buffer_load_dword v19, s[4:7], 0 offen lds                 // 000000003304: E0511000 80010013
	v_mfma_f32_16x16x16_bf16 v[32:35], a[70:71], a[6:7], v[32:35]// 00000000330C: D3E10020 1C820D46
	s_add_u32 m0, 0x300, s46                                   // 000000003314: 807C2EFF 00000300
	buffer_load_dword v20, s[4:7], 0 offen lds                 // 00000000331C: E0511000 80010014
	ds_read_b128 a[40:43], v25 offset:8832                     // 000000003324: DBFE2280 28000019
	ds_read_b128 a[44:47], v25 offset:8896                     // 00000000332C: DBFE22C0 2C000019
	v_mfma_f32_16x16x16_bf16 v[36:39], a[64:65], a[8:9], v[36:39]// 000000003334: D3E10024 1C921140
	s_add_u32 m0, 0x400, s46                                   // 00000000333C: 807C2EFF 00000400
	buffer_load_dword v21, s[4:7], 0 offen lds                 // 000000003344: E0511000 80010015
	v_mfma_f32_16x16x16_bf16 v[36:39], a[66:67], a[10:11], v[36:39]// 00000000334C: D3E10024 1C921542
	s_add_u32 m0, 0x500, s46                                   // 000000003354: 807C2EFF 00000500
	buffer_load_dword v22, s[4:7], 0 offen lds                 // 00000000335C: E0511000 80010016
	ds_read_b128 a[48:51], v25 offset:9344                     // 000000003364: DBFE2480 30000019
	ds_read_b128 a[52:55], v25 offset:9408                     // 00000000336C: DBFE24C0 34000019
	v_mfma_f32_16x16x16_bf16 v[36:39], a[68:69], a[12:13], v[36:39]// 000000003374: D3E10024 1C921944
	s_add_u32 m0, 0x600, s46                                   // 00000000337C: 807C2EFF 00000600
	buffer_load_dword v23, s[4:7], 0 offen lds                 // 000000003384: E0511000 80010017
	v_mfma_f32_16x16x16_bf16 v[36:39], a[70:71], a[14:15], v[36:39]// 00000000338C: D3E10024 1C921D46
	s_add_u32 m0, 0x700, s46                                   // 000000003394: 807C2EFF 00000700
	buffer_load_dword v24, s[4:7], 0 offen lds                 // 00000000339C: E0511000 80010018
	ds_read_b128 a[56:59], v25 offset:9856                     // 0000000033A4: DBFE2680 38000019
	ds_read_b128 a[60:63], v25 offset:9920                     // 0000000033AC: DBFE26C0 3C000019
	v_mfma_f32_16x16x16_bf16 v[40:43], a[64:65], a[16:17], v[40:43]// 0000000033B4: D3E10028 1CA22140
	s_add_u32 s31, 0x100, s33                                  // 0000000033BC: 801F21FF 00000100
	s_cmp_lt_u32 s31, s34                                      // 0000000033C4: BF0A221F
	s_cselect_b32 s44, s44, 0                                  // 0000000033C8: 852C802C
	buffer_load_dwordx4 a[80:83], v26, s[8:11], 0 offen        // 0000000033CC: E05C1000 8082501A
	v_mfma_f32_16x16x16_bf16 v[40:43], a[66:67], a[18:19], v[40:43]// 0000000033D4: D3E10028 1CA22542
	buffer_load_dwordx4 a[84:87], v27, s[8:11], 0 offen        // 0000000033DC: E05C1000 8082541B
	s_add_u32 s4, s44, s4                                      // 0000000033E4: 8004042C
	s_addc_u32 s5, 0, s5                                       // 0000000033E8: 82050580
	v_mfma_f32_16x16x16_bf16 v[40:43], a[68:69], a[20:21], v[40:43]// 0000000033EC: D3E10028 1CA22944
	s_add_u32 s31, 0xc0, s33                                   // 0000000033F4: 801F21FF 000000C0
	s_cmp_lt_u32 s31, s34                                      // 0000000033FC: BF0A221F
	s_cselect_b32 s45, s45, 0                                  // 000000003400: 852D802D
	v_mfma_f32_16x16x16_bf16 v[40:43], a[70:71], a[22:23], v[40:43]// 000000003404: D3E10028 1CA22D46
	s_add_u32 s8, s45, s8                                      // 00000000340C: 8008082D
	s_addc_u32 s9, 0, s9                                       // 000000003410: 82090980
	v_mfma_f32_16x16x16_bf16 v[44:47], a[64:65], a[24:25], v[44:47]// 000000003414: D3E1002C 1CB23140
	v_mfma_f32_16x16x16_bf16 v[44:47], a[66:67], a[26:27], v[44:47]// 00000000341C: D3E1002C 1CB23542
	v_mfma_f32_16x16x16_bf16 v[44:47], a[68:69], a[28:29], v[44:47]// 000000003424: D3E1002C 1CB23944
	v_mfma_f32_16x16x16_bf16 v[44:47], a[70:71], a[30:31], v[44:47]// 00000000342C: D3E1002C 1CB23D46
	s_addk_i32 s33, 0x40                                       // 000000003434: B7210040
	s_cmp_lt_i32 s33, s34                                      // 000000003438: BF042221
	s_cbranch_scc0 label_06DE                                  // 00000000343C: BF84044E
	s_waitcnt vmcnt(10) lgkmcnt(0)                             // 000000003440: BF8C007A
	s_barrier                                                  // 000000003444: BF8A0000
	v_mfma_f32_16x16x16_bf16 v[32:35], a[72:73], a[32:33], v[32:35]// 000000003448: D3E10020 1C824148
	s_add_u32 m0, 0, s47                                       // 000000003450: 807C2F80
	buffer_load_dword v17, s[4:7], 0 offen lds                 // 000000003454: E0511000 80010011
	v_mfma_f32_16x16x16_bf16 v[32:35], a[74:75], a[34:35], v[32:35]// 00000000345C: D3E10020 1C82454A
	s_add_u32 m0, 0x100, s47                                   // 000000003464: 807C2FFF 00000100
	buffer_load_dword v18, s[4:7], 0 offen lds                 // 00000000346C: E0511000 80010012
	ds_read_b128 a[0:3], v25 offset:16640                      // 000000003474: DBFE4100 00000019
	ds_read_b128 a[4:7], v25 offset:16704                      // 00000000347C: DBFE4140 04000019
	v_mfma_f32_16x16x16_bf16 v[32:35], a[76:77], a[36:37], v[32:35]// 000000003484: D3E10020 1C82494C
	s_add_u32 m0, 0x200, s47                                   // 00000000348C: 807C2FFF 00000200
	buffer_load_dword v19, s[4:7], 0 offen lds                 // 000000003494: E0511000 80010013
	v_mfma_f32_16x16x16_bf16 v[32:35], a[78:79], a[38:39], v[32:35]// 00000000349C: D3E10020 1C824D4E
	s_add_u32 m0, 0x300, s47                                   // 0000000034A4: 807C2FFF 00000300
	buffer_load_dword v20, s[4:7], 0 offen lds                 // 0000000034AC: E0511000 80010014
	ds_read_b128 a[8:11], v25 offset:17152                     // 0000000034B4: DBFE4300 08000019
	ds_read_b128 a[12:15], v25 offset:17216                    // 0000000034BC: DBFE4340 0C000019
	v_mfma_f32_16x16x16_bf16 v[36:39], a[72:73], a[40:41], v[36:39]// 0000000034C4: D3E10024 1C925148
	s_add_u32 m0, 0x400, s47                                   // 0000000034CC: 807C2FFF 00000400
	buffer_load_dword v21, s[4:7], 0 offen lds                 // 0000000034D4: E0511000 80010015
	v_mfma_f32_16x16x16_bf16 v[36:39], a[74:75], a[42:43], v[36:39]// 0000000034DC: D3E10024 1C92554A
	s_add_u32 m0, 0x500, s47                                   // 0000000034E4: 807C2FFF 00000500
	buffer_load_dword v22, s[4:7], 0 offen lds                 // 0000000034EC: E0511000 80010016
	ds_read_b128 a[16:19], v25 offset:17664                    // 0000000034F4: DBFE4500 10000019
	ds_read_b128 a[20:23], v25 offset:17728                    // 0000000034FC: DBFE4540 14000019
	v_mfma_f32_16x16x16_bf16 v[36:39], a[76:77], a[44:45], v[36:39]// 000000003504: D3E10024 1C92594C
	s_add_u32 m0, 0x600, s47                                   // 00000000350C: 807C2FFF 00000600
	buffer_load_dword v23, s[4:7], 0 offen lds                 // 000000003514: E0511000 80010017
	v_mfma_f32_16x16x16_bf16 v[36:39], a[78:79], a[46:47], v[36:39]// 00000000351C: D3E10024 1C925D4E
	s_add_u32 m0, 0x700, s47                                   // 000000003524: 807C2FFF 00000700
	buffer_load_dword v24, s[4:7], 0 offen lds                 // 00000000352C: E0511000 80010018
	ds_read_b128 a[24:27], v25 offset:18176                    // 000000003534: DBFE4700 18000019
	ds_read_b128 a[28:31], v25 offset:18240                    // 00000000353C: DBFE4740 1C000019
	v_mfma_f32_16x16x16_bf16 v[40:43], a[72:73], a[48:49], v[40:43]// 000000003544: D3E10028 1CA26148
	s_add_u32 s31, 0x100, s33                                  // 00000000354C: 801F21FF 00000100
	s_cmp_lt_u32 s31, s34                                      // 000000003554: BF0A221F
	s_cselect_b32 s44, s44, 0                                  // 000000003558: 852C802C
	buffer_load_dwordx4 a[64:67], v26, s[8:11], 0 offen        // 00000000355C: E05C1000 8082401A
	v_mfma_f32_16x16x16_bf16 v[40:43], a[74:75], a[50:51], v[40:43]// 000000003564: D3E10028 1CA2654A
	buffer_load_dwordx4 a[68:71], v27, s[8:11], 0 offen        // 00000000356C: E05C1000 8082441B
	s_add_u32 s4, s44, s4                                      // 000000003574: 8004042C
	s_addc_u32 s5, 0, s5                                       // 000000003578: 82050580
	v_mfma_f32_16x16x16_bf16 v[40:43], a[76:77], a[52:53], v[40:43]// 00000000357C: D3E10028 1CA2694C
	s_add_u32 s31, 0xc0, s33                                   // 000000003584: 801F21FF 000000C0
	s_cmp_lt_u32 s31, s34                                      // 00000000358C: BF0A221F
	s_cselect_b32 s45, s45, 0                                  // 000000003590: 852D802D
	v_mfma_f32_16x16x16_bf16 v[40:43], a[78:79], a[54:55], v[40:43]// 000000003594: D3E10028 1CA26D4E
	s_add_u32 s8, s45, s8                                      // 00000000359C: 8008082D
	s_addc_u32 s9, 0, s9                                       // 0000000035A0: 82090980
	v_mfma_f32_16x16x16_bf16 v[44:47], a[72:73], a[56:57], v[44:47]// 0000000035A4: D3E1002C 1CB27148
	v_mfma_f32_16x16x16_bf16 v[44:47], a[74:75], a[58:59], v[44:47]// 0000000035AC: D3E1002C 1CB2754A
	v_mfma_f32_16x16x16_bf16 v[44:47], a[76:77], a[60:61], v[44:47]// 0000000035B4: D3E1002C 1CB2794C
	v_mfma_f32_16x16x16_bf16 v[44:47], a[78:79], a[62:63], v[44:47]// 0000000035BC: D3E1002C 1CB27D4E
	s_addk_i32 s33, 0x40                                       // 0000000035C4: B7210040
	s_cmp_lt_i32 s33, s34                                      // 0000000035C8: BF042221
	s_cbranch_scc0 label_06DE                                  // 0000000035CC: BF8403EA
	s_waitcnt vmcnt(10) lgkmcnt(0)                             // 0000000035D0: BF8C007A
	s_barrier                                                  // 0000000035D4: BF8A0000
	v_mfma_f32_16x16x16_bf16 v[32:35], a[80:81], a[0:1], v[32:35]// 0000000035D8: D3E10020 1C820150
	s_add_u32 m0, 0, s48                                       // 0000000035E0: 807C3080
	buffer_load_dword v17, s[4:7], 0 offen lds                 // 0000000035E4: E0511000 80010011
	v_mfma_f32_16x16x16_bf16 v[32:35], a[82:83], a[2:3], v[32:35]// 0000000035EC: D3E10020 1C820552
	s_add_u32 m0, 0x100, s48                                   // 0000000035F4: 807C30FF 00000100
	buffer_load_dword v18, s[4:7], 0 offen lds                 // 0000000035FC: E0511000 80010012
	ds_read_b128 a[32:35], v25                                 // 000000003604: DBFE0000 20000019
	ds_read_b128 a[36:39], v25 offset:64                       // 00000000360C: DBFE0040 24000019
	v_mfma_f32_16x16x16_bf16 v[32:35], a[84:85], a[4:5], v[32:35]// 000000003614: D3E10020 1C820954
	s_add_u32 m0, 0x200, s48                                   // 00000000361C: 807C30FF 00000200
	buffer_load_dword v19, s[4:7], 0 offen lds                 // 000000003624: E0511000 80010013
	v_mfma_f32_16x16x16_bf16 v[32:35], a[86:87], a[6:7], v[32:35]// 00000000362C: D3E10020 1C820D56
	s_add_u32 m0, 0x300, s48                                   // 000000003634: 807C30FF 00000300
	buffer_load_dword v20, s[4:7], 0 offen lds                 // 00000000363C: E0511000 80010014
	ds_read_b128 a[40:43], v25 offset:512                      // 000000003644: DBFE0200 28000019
	ds_read_b128 a[44:47], v25 offset:576                      // 00000000364C: DBFE0240 2C000019
	v_mfma_f32_16x16x16_bf16 v[36:39], a[80:81], a[8:9], v[36:39]// 000000003654: D3E10024 1C921150
	s_add_u32 m0, 0x400, s48                                   // 00000000365C: 807C30FF 00000400
	buffer_load_dword v21, s[4:7], 0 offen lds                 // 000000003664: E0511000 80010015
	v_mfma_f32_16x16x16_bf16 v[36:39], a[82:83], a[10:11], v[36:39]// 00000000366C: D3E10024 1C921552
	s_add_u32 m0, 0x500, s48                                   // 000000003674: 807C30FF 00000500
	buffer_load_dword v22, s[4:7], 0 offen lds                 // 00000000367C: E0511000 80010016
	ds_read_b128 a[48:51], v25 offset:1024                     // 000000003684: DBFE0400 30000019
	ds_read_b128 a[52:55], v25 offset:1088                     // 00000000368C: DBFE0440 34000019
	v_mfma_f32_16x16x16_bf16 v[36:39], a[84:85], a[12:13], v[36:39]// 000000003694: D3E10024 1C921954
	s_add_u32 m0, 0x600, s48                                   // 00000000369C: 807C30FF 00000600
	buffer_load_dword v23, s[4:7], 0 offen lds                 // 0000000036A4: E0511000 80010017
	v_mfma_f32_16x16x16_bf16 v[36:39], a[86:87], a[14:15], v[36:39]// 0000000036AC: D3E10024 1C921D56
	s_add_u32 m0, 0x700, s48                                   // 0000000036B4: 807C30FF 00000700
	buffer_load_dword v24, s[4:7], 0 offen lds                 // 0000000036BC: E0511000 80010018
	ds_read_b128 a[56:59], v25 offset:1536                     // 0000000036C4: DBFE0600 38000019
	ds_read_b128 a[60:63], v25 offset:1600                     // 0000000036CC: DBFE0640 3C000019
	v_mfma_f32_16x16x16_bf16 v[40:43], a[80:81], a[16:17], v[40:43]// 0000000036D4: D3E10028 1CA22150
	s_add_u32 s31, 0x100, s33                                  // 0000000036DC: 801F21FF 00000100
	s_cmp_lt_u32 s31, s34                                      // 0000000036E4: BF0A221F
	s_cselect_b32 s44, s44, 0                                  // 0000000036E8: 852C802C
	buffer_load_dwordx4 a[72:75], v26, s[8:11], 0 offen        // 0000000036EC: E05C1000 8082481A
	v_mfma_f32_16x16x16_bf16 v[40:43], a[82:83], a[18:19], v[40:43]// 0000000036F4: D3E10028 1CA22552
	buffer_load_dwordx4 a[76:79], v27, s[8:11], 0 offen        // 0000000036FC: E05C1000 80824C1B
	s_add_u32 s4, s44, s4                                      // 000000003704: 8004042C
	s_addc_u32 s5, 0, s5                                       // 000000003708: 82050580
	v_mfma_f32_16x16x16_bf16 v[40:43], a[84:85], a[20:21], v[40:43]// 00000000370C: D3E10028 1CA22954
	s_add_u32 s31, 0xc0, s33                                   // 000000003714: 801F21FF 000000C0
	s_cmp_lt_u32 s31, s34                                      // 00000000371C: BF0A221F
	s_cselect_b32 s45, s45, 0                                  // 000000003720: 852D802D
	v_mfma_f32_16x16x16_bf16 v[40:43], a[86:87], a[22:23], v[40:43]// 000000003724: D3E10028 1CA22D56
	s_add_u32 s8, s45, s8                                      // 00000000372C: 8008082D
	s_addc_u32 s9, 0, s9                                       // 000000003730: 82090980
	v_mfma_f32_16x16x16_bf16 v[44:47], a[80:81], a[24:25], v[44:47]// 000000003734: D3E1002C 1CB23150
	v_mfma_f32_16x16x16_bf16 v[44:47], a[82:83], a[26:27], v[44:47]// 00000000373C: D3E1002C 1CB23552
	v_mfma_f32_16x16x16_bf16 v[44:47], a[84:85], a[28:29], v[44:47]// 000000003744: D3E1002C 1CB23954
	v_mfma_f32_16x16x16_bf16 v[44:47], a[86:87], a[30:31], v[44:47]// 00000000374C: D3E1002C 1CB23D56
	s_addk_i32 s33, 0x40                                       // 000000003754: B7210040
	s_cmp_lt_i32 s33, s34                                      // 000000003758: BF042221
	s_cbranch_scc0 label_06DE                                  // 00000000375C: BF840386
	s_waitcnt vmcnt(10) lgkmcnt(0)                             // 000000003760: BF8C007A
	s_barrier                                                  // 000000003764: BF8A0000
	v_mfma_f32_16x16x16_bf16 v[32:35], a[64:65], a[32:33], v[32:35]// 000000003768: D3E10020 1C824140
	s_add_u32 m0, 0, s46                                       // 000000003770: 807C2E80
	buffer_load_dword v17, s[4:7], 0 offen lds                 // 000000003774: E0511000 80010011
	v_mfma_f32_16x16x16_bf16 v[32:35], a[66:67], a[34:35], v[32:35]// 00000000377C: D3E10020 1C824542
	s_add_u32 m0, 0x100, s46                                   // 000000003784: 807C2EFF 00000100
	buffer_load_dword v18, s[4:7], 0 offen lds                 // 00000000378C: E0511000 80010012
	ds_read_b128 a[0:3], v25 offset:8320                       // 000000003794: DBFE2080 00000019
	ds_read_b128 a[4:7], v25 offset:8384                       // 00000000379C: DBFE20C0 04000019
	v_mfma_f32_16x16x16_bf16 v[32:35], a[68:69], a[36:37], v[32:35]// 0000000037A4: D3E10020 1C824944
	s_add_u32 m0, 0x200, s46                                   // 0000000037AC: 807C2EFF 00000200
	buffer_load_dword v19, s[4:7], 0 offen lds                 // 0000000037B4: E0511000 80010013
	v_mfma_f32_16x16x16_bf16 v[32:35], a[70:71], a[38:39], v[32:35]// 0000000037BC: D3E10020 1C824D46
	s_add_u32 m0, 0x300, s46                                   // 0000000037C4: 807C2EFF 00000300
	buffer_load_dword v20, s[4:7], 0 offen lds                 // 0000000037CC: E0511000 80010014
	ds_read_b128 a[8:11], v25 offset:8832                      // 0000000037D4: DBFE2280 08000019
	ds_read_b128 a[12:15], v25 offset:8896                     // 0000000037DC: DBFE22C0 0C000019
	v_mfma_f32_16x16x16_bf16 v[36:39], a[64:65], a[40:41], v[36:39]// 0000000037E4: D3E10024 1C925140
	s_add_u32 m0, 0x400, s46                                   // 0000000037EC: 807C2EFF 00000400
	buffer_load_dword v21, s[4:7], 0 offen lds                 // 0000000037F4: E0511000 80010015
	v_mfma_f32_16x16x16_bf16 v[36:39], a[66:67], a[42:43], v[36:39]// 0000000037FC: D3E10024 1C925542
	s_add_u32 m0, 0x500, s46                                   // 000000003804: 807C2EFF 00000500
	buffer_load_dword v22, s[4:7], 0 offen lds                 // 00000000380C: E0511000 80010016
	ds_read_b128 a[16:19], v25 offset:9344                     // 000000003814: DBFE2480 10000019
	ds_read_b128 a[20:23], v25 offset:9408                     // 00000000381C: DBFE24C0 14000019
	v_mfma_f32_16x16x16_bf16 v[36:39], a[68:69], a[44:45], v[36:39]// 000000003824: D3E10024 1C925944
	s_add_u32 m0, 0x600, s46                                   // 00000000382C: 807C2EFF 00000600
	buffer_load_dword v23, s[4:7], 0 offen lds                 // 000000003834: E0511000 80010017
	v_mfma_f32_16x16x16_bf16 v[36:39], a[70:71], a[46:47], v[36:39]// 00000000383C: D3E10024 1C925D46
	s_add_u32 m0, 0x700, s46                                   // 000000003844: 807C2EFF 00000700
	buffer_load_dword v24, s[4:7], 0 offen lds                 // 00000000384C: E0511000 80010018
	ds_read_b128 a[24:27], v25 offset:9856                     // 000000003854: DBFE2680 18000019
	ds_read_b128 a[28:31], v25 offset:9920                     // 00000000385C: DBFE26C0 1C000019
	v_mfma_f32_16x16x16_bf16 v[40:43], a[64:65], a[48:49], v[40:43]// 000000003864: D3E10028 1CA26140
	s_add_u32 s31, 0x100, s33                                  // 00000000386C: 801F21FF 00000100
	s_cmp_lt_u32 s31, s34                                      // 000000003874: BF0A221F
	s_cselect_b32 s44, s44, 0                                  // 000000003878: 852C802C
	buffer_load_dwordx4 a[80:83], v26, s[8:11], 0 offen        // 00000000387C: E05C1000 8082501A
	v_mfma_f32_16x16x16_bf16 v[40:43], a[66:67], a[50:51], v[40:43]// 000000003884: D3E10028 1CA26542
	buffer_load_dwordx4 a[84:87], v27, s[8:11], 0 offen        // 00000000388C: E05C1000 8082541B
	s_add_u32 s4, s44, s4                                      // 000000003894: 8004042C
	s_addc_u32 s5, 0, s5                                       // 000000003898: 82050580
	v_mfma_f32_16x16x16_bf16 v[40:43], a[68:69], a[52:53], v[40:43]// 00000000389C: D3E10028 1CA26944
	s_add_u32 s31, 0xc0, s33                                   // 0000000038A4: 801F21FF 000000C0
	s_cmp_lt_u32 s31, s34                                      // 0000000038AC: BF0A221F
	s_cselect_b32 s45, s45, 0                                  // 0000000038B0: 852D802D
	v_mfma_f32_16x16x16_bf16 v[40:43], a[70:71], a[54:55], v[40:43]// 0000000038B4: D3E10028 1CA26D46
	s_add_u32 s8, s45, s8                                      // 0000000038BC: 8008082D
	s_addc_u32 s9, 0, s9                                       // 0000000038C0: 82090980
	v_mfma_f32_16x16x16_bf16 v[44:47], a[64:65], a[56:57], v[44:47]// 0000000038C4: D3E1002C 1CB27140
	v_mfma_f32_16x16x16_bf16 v[44:47], a[66:67], a[58:59], v[44:47]// 0000000038CC: D3E1002C 1CB27542
	v_mfma_f32_16x16x16_bf16 v[44:47], a[68:69], a[60:61], v[44:47]// 0000000038D4: D3E1002C 1CB27944
	v_mfma_f32_16x16x16_bf16 v[44:47], a[70:71], a[62:63], v[44:47]// 0000000038DC: D3E1002C 1CB27D46
	s_addk_i32 s33, 0x40                                       // 0000000038E4: B7210040
	s_cmp_lt_i32 s33, s34                                      // 0000000038E8: BF042221
	s_cbranch_scc0 label_06DE                                  // 0000000038EC: BF840322
	s_waitcnt vmcnt(10) lgkmcnt(0)                             // 0000000038F0: BF8C007A
	s_barrier                                                  // 0000000038F4: BF8A0000
	v_mfma_f32_16x16x16_bf16 v[32:35], a[72:73], a[0:1], v[32:35]// 0000000038F8: D3E10020 1C820148
	s_add_u32 m0, 0, s47                                       // 000000003900: 807C2F80
	buffer_load_dword v17, s[4:7], 0 offen lds                 // 000000003904: E0511000 80010011
	v_mfma_f32_16x16x16_bf16 v[32:35], a[74:75], a[2:3], v[32:35]// 00000000390C: D3E10020 1C82054A
	s_add_u32 m0, 0x100, s47                                   // 000000003914: 807C2FFF 00000100
	buffer_load_dword v18, s[4:7], 0 offen lds                 // 00000000391C: E0511000 80010012
	ds_read_b128 a[32:35], v25 offset:16640                    // 000000003924: DBFE4100 20000019
	ds_read_b128 a[36:39], v25 offset:16704                    // 00000000392C: DBFE4140 24000019
	v_mfma_f32_16x16x16_bf16 v[32:35], a[76:77], a[4:5], v[32:35]// 000000003934: D3E10020 1C82094C
	s_add_u32 m0, 0x200, s47                                   // 00000000393C: 807C2FFF 00000200
	buffer_load_dword v19, s[4:7], 0 offen lds                 // 000000003944: E0511000 80010013
	v_mfma_f32_16x16x16_bf16 v[32:35], a[78:79], a[6:7], v[32:35]// 00000000394C: D3E10020 1C820D4E
	s_add_u32 m0, 0x300, s47                                   // 000000003954: 807C2FFF 00000300
	buffer_load_dword v20, s[4:7], 0 offen lds                 // 00000000395C: E0511000 80010014
	ds_read_b128 a[40:43], v25 offset:17152                    // 000000003964: DBFE4300 28000019
	ds_read_b128 a[44:47], v25 offset:17216                    // 00000000396C: DBFE4340 2C000019
	v_mfma_f32_16x16x16_bf16 v[36:39], a[72:73], a[8:9], v[36:39]// 000000003974: D3E10024 1C921148
	s_add_u32 m0, 0x400, s47                                   // 00000000397C: 807C2FFF 00000400
	buffer_load_dword v21, s[4:7], 0 offen lds                 // 000000003984: E0511000 80010015
	v_mfma_f32_16x16x16_bf16 v[36:39], a[74:75], a[10:11], v[36:39]// 00000000398C: D3E10024 1C92154A
	s_add_u32 m0, 0x500, s47                                   // 000000003994: 807C2FFF 00000500
	buffer_load_dword v22, s[4:7], 0 offen lds                 // 00000000399C: E0511000 80010016
	ds_read_b128 a[48:51], v25 offset:17664                    // 0000000039A4: DBFE4500 30000019
	ds_read_b128 a[52:55], v25 offset:17728                    // 0000000039AC: DBFE4540 34000019
	v_mfma_f32_16x16x16_bf16 v[36:39], a[76:77], a[12:13], v[36:39]// 0000000039B4: D3E10024 1C92194C
	s_add_u32 m0, 0x600, s47                                   // 0000000039BC: 807C2FFF 00000600
	buffer_load_dword v23, s[4:7], 0 offen lds                 // 0000000039C4: E0511000 80010017
	v_mfma_f32_16x16x16_bf16 v[36:39], a[78:79], a[14:15], v[36:39]// 0000000039CC: D3E10024 1C921D4E
	s_add_u32 m0, 0x700, s47                                   // 0000000039D4: 807C2FFF 00000700
	buffer_load_dword v24, s[4:7], 0 offen lds                 // 0000000039DC: E0511000 80010018
	ds_read_b128 a[56:59], v25 offset:18176                    // 0000000039E4: DBFE4700 38000019
	ds_read_b128 a[60:63], v25 offset:18240                    // 0000000039EC: DBFE4740 3C000019
	v_mfma_f32_16x16x16_bf16 v[40:43], a[72:73], a[16:17], v[40:43]// 0000000039F4: D3E10028 1CA22148
	s_add_u32 s31, 0x100, s33                                  // 0000000039FC: 801F21FF 00000100
	s_cmp_lt_u32 s31, s34                                      // 000000003A04: BF0A221F
	s_cselect_b32 s44, s44, 0                                  // 000000003A08: 852C802C
	buffer_load_dwordx4 a[64:67], v26, s[8:11], 0 offen        // 000000003A0C: E05C1000 8082401A
	v_mfma_f32_16x16x16_bf16 v[40:43], a[74:75], a[18:19], v[40:43]// 000000003A14: D3E10028 1CA2254A
	buffer_load_dwordx4 a[68:71], v27, s[8:11], 0 offen        // 000000003A1C: E05C1000 8082441B
	s_add_u32 s4, s44, s4                                      // 000000003A24: 8004042C
	s_addc_u32 s5, 0, s5                                       // 000000003A28: 82050580
	v_mfma_f32_16x16x16_bf16 v[40:43], a[76:77], a[20:21], v[40:43]// 000000003A2C: D3E10028 1CA2294C
	s_add_u32 s31, 0xc0, s33                                   // 000000003A34: 801F21FF 000000C0
	s_cmp_lt_u32 s31, s34                                      // 000000003A3C: BF0A221F
	s_cselect_b32 s45, s45, 0                                  // 000000003A40: 852D802D
	v_mfma_f32_16x16x16_bf16 v[40:43], a[78:79], a[22:23], v[40:43]// 000000003A44: D3E10028 1CA22D4E
	s_add_u32 s8, s45, s8                                      // 000000003A4C: 8008082D
	s_addc_u32 s9, 0, s9                                       // 000000003A50: 82090980
	v_mfma_f32_16x16x16_bf16 v[44:47], a[72:73], a[24:25], v[44:47]// 000000003A54: D3E1002C 1CB23148
	v_mfma_f32_16x16x16_bf16 v[44:47], a[74:75], a[26:27], v[44:47]// 000000003A5C: D3E1002C 1CB2354A
	v_mfma_f32_16x16x16_bf16 v[44:47], a[76:77], a[28:29], v[44:47]// 000000003A64: D3E1002C 1CB2394C
	v_mfma_f32_16x16x16_bf16 v[44:47], a[78:79], a[30:31], v[44:47]// 000000003A6C: D3E1002C 1CB23D4E
	s_addk_i32 s33, 0x40                                       // 000000003A74: B7210040
	s_cmp_lt_i32 s33, s34                                      // 000000003A78: BF042221
	s_cbranch_scc0 label_06DE                                  // 000000003A7C: BF8402BE
	s_waitcnt vmcnt(10) lgkmcnt(0)                             // 000000003A80: BF8C007A
	s_barrier                                                  // 000000003A84: BF8A0000
	v_mfma_f32_16x16x16_bf16 v[32:35], a[80:81], a[32:33], v[32:35]// 000000003A88: D3E10020 1C824150
	s_add_u32 m0, 0, s48                                       // 000000003A90: 807C3080
	buffer_load_dword v17, s[4:7], 0 offen lds                 // 000000003A94: E0511000 80010011
	v_mfma_f32_16x16x16_bf16 v[32:35], a[82:83], a[34:35], v[32:35]// 000000003A9C: D3E10020 1C824552
	s_add_u32 m0, 0x100, s48                                   // 000000003AA4: 807C30FF 00000100
	buffer_load_dword v18, s[4:7], 0 offen lds                 // 000000003AAC: E0511000 80010012
	ds_read_b128 a[0:3], v25                                   // 000000003AB4: DBFE0000 00000019
	ds_read_b128 a[4:7], v25 offset:64                         // 000000003ABC: DBFE0040 04000019
	v_mfma_f32_16x16x16_bf16 v[32:35], a[84:85], a[36:37], v[32:35]// 000000003AC4: D3E10020 1C824954
	s_add_u32 m0, 0x200, s48                                   // 000000003ACC: 807C30FF 00000200
	buffer_load_dword v19, s[4:7], 0 offen lds                 // 000000003AD4: E0511000 80010013
	v_mfma_f32_16x16x16_bf16 v[32:35], a[86:87], a[38:39], v[32:35]// 000000003ADC: D3E10020 1C824D56
	s_add_u32 m0, 0x300, s48                                   // 000000003AE4: 807C30FF 00000300
	buffer_load_dword v20, s[4:7], 0 offen lds                 // 000000003AEC: E0511000 80010014
	ds_read_b128 a[8:11], v25 offset:512                       // 000000003AF4: DBFE0200 08000019
	ds_read_b128 a[12:15], v25 offset:576                      // 000000003AFC: DBFE0240 0C000019
	v_mfma_f32_16x16x16_bf16 v[36:39], a[80:81], a[40:41], v[36:39]// 000000003B04: D3E10024 1C925150
	s_add_u32 m0, 0x400, s48                                   // 000000003B0C: 807C30FF 00000400
	buffer_load_dword v21, s[4:7], 0 offen lds                 // 000000003B14: E0511000 80010015
	v_mfma_f32_16x16x16_bf16 v[36:39], a[82:83], a[42:43], v[36:39]// 000000003B1C: D3E10024 1C925552
	s_add_u32 m0, 0x500, s48                                   // 000000003B24: 807C30FF 00000500
	buffer_load_dword v22, s[4:7], 0 offen lds                 // 000000003B2C: E0511000 80010016
	ds_read_b128 a[16:19], v25 offset:1024                     // 000000003B34: DBFE0400 10000019
	ds_read_b128 a[20:23], v25 offset:1088                     // 000000003B3C: DBFE0440 14000019
	v_mfma_f32_16x16x16_bf16 v[36:39], a[84:85], a[44:45], v[36:39]// 000000003B44: D3E10024 1C925954
	s_add_u32 m0, 0x600, s48                                   // 000000003B4C: 807C30FF 00000600
	buffer_load_dword v23, s[4:7], 0 offen lds                 // 000000003B54: E0511000 80010017
	v_mfma_f32_16x16x16_bf16 v[36:39], a[86:87], a[46:47], v[36:39]// 000000003B5C: D3E10024 1C925D56
	s_add_u32 m0, 0x700, s48                                   // 000000003B64: 807C30FF 00000700
	buffer_load_dword v24, s[4:7], 0 offen lds                 // 000000003B6C: E0511000 80010018
	ds_read_b128 a[24:27], v25 offset:1536                     // 000000003B74: DBFE0600 18000019
	ds_read_b128 a[28:31], v25 offset:1600                     // 000000003B7C: DBFE0640 1C000019
	v_mfma_f32_16x16x16_bf16 v[40:43], a[80:81], a[48:49], v[40:43]// 000000003B84: D3E10028 1CA26150
	s_add_u32 s31, 0x100, s33                                  // 000000003B8C: 801F21FF 00000100
	s_cmp_lt_u32 s31, s34                                      // 000000003B94: BF0A221F
	s_cselect_b32 s44, s44, 0                                  // 000000003B98: 852C802C
	buffer_load_dwordx4 a[72:75], v26, s[8:11], 0 offen        // 000000003B9C: E05C1000 8082481A
	v_mfma_f32_16x16x16_bf16 v[40:43], a[82:83], a[50:51], v[40:43]// 000000003BA4: D3E10028 1CA26552
	buffer_load_dwordx4 a[76:79], v27, s[8:11], 0 offen        // 000000003BAC: E05C1000 80824C1B
	s_add_u32 s4, s44, s4                                      // 000000003BB4: 8004042C
	s_addc_u32 s5, 0, s5                                       // 000000003BB8: 82050580
	v_mfma_f32_16x16x16_bf16 v[40:43], a[84:85], a[52:53], v[40:43]// 000000003BBC: D3E10028 1CA26954
	s_add_u32 s31, 0xc0, s33                                   // 000000003BC4: 801F21FF 000000C0
	s_cmp_lt_u32 s31, s34                                      // 000000003BCC: BF0A221F
	s_cselect_b32 s45, s45, 0                                  // 000000003BD0: 852D802D
	v_mfma_f32_16x16x16_bf16 v[40:43], a[86:87], a[54:55], v[40:43]// 000000003BD4: D3E10028 1CA26D56
	s_add_u32 s8, s45, s8                                      // 000000003BDC: 8008082D
	s_addc_u32 s9, 0, s9                                       // 000000003BE0: 82090980
	v_mfma_f32_16x16x16_bf16 v[44:47], a[80:81], a[56:57], v[44:47]// 000000003BE4: D3E1002C 1CB27150
	v_mfma_f32_16x16x16_bf16 v[44:47], a[82:83], a[58:59], v[44:47]// 000000003BEC: D3E1002C 1CB27552
	v_mfma_f32_16x16x16_bf16 v[44:47], a[84:85], a[60:61], v[44:47]// 000000003BF4: D3E1002C 1CB27954
	v_mfma_f32_16x16x16_bf16 v[44:47], a[86:87], a[62:63], v[44:47]// 000000003BFC: D3E1002C 1CB27D56
	s_addk_i32 s33, 0x40                                       // 000000003C04: B7210040
	s_cmp_lt_i32 s33, s34                                      // 000000003C08: BF042221
	s_cbranch_scc0 label_06DE                                  // 000000003C0C: BF84025A
	s_branch label_022C                                        // 000000003C10: BF82FDA7

0000000000003c14 <label_0485>:
	s_waitcnt vmcnt(10) lgkmcnt(0)                             // 000000003C14: BF8C007A
	s_barrier                                                  // 000000003C18: BF8A0000
	v_mfma_f32_16x16x16_bf16 v[32:35], a[64:65], a[0:1], v[32:35]// 000000003C1C: D3E10020 1C820140
	s_add_u32 m0, 0, s46                                       // 000000003C24: 807C2E80
	buffer_load_dword v17, s[4:7], 0 offen lds                 // 000000003C28: E0511000 80010011
	ds_read_b128 a[32:35], v25 offset:8320                     // 000000003C30: DBFE2080 20000019
	ds_read_b128 a[36:39], v25 offset:8384                     // 000000003C38: DBFE20C0 24000019
	v_mfma_f32_16x16x16_bf16 v[32:35], a[66:67], a[2:3], v[32:35]// 000000003C40: D3E10020 1C820542
	s_add_u32 m0, 0x100, s46                                   // 000000003C48: 807C2EFF 00000100
	buffer_load_dword v18, s[4:7], 0 offen lds                 // 000000003C50: E0511000 80010012
	v_mfma_f32_16x16x16_bf16 v[32:35], a[68:69], a[4:5], v[32:35]// 000000003C58: D3E10020 1C820944
	s_add_u32 m0, 0x200, s46                                   // 000000003C60: 807C2EFF 00000200
	buffer_load_dword v19, s[4:7], 0 offen lds                 // 000000003C68: E0511000 80010013
	ds_read_b128 a[40:43], v25 offset:8832                     // 000000003C70: DBFE2280 28000019
	ds_read_b128 a[44:47], v25 offset:8896                     // 000000003C78: DBFE22C0 2C000019
	v_mfma_f32_16x16x16_bf16 v[32:35], a[70:71], a[6:7], v[32:35]// 000000003C80: D3E10020 1C820D46
	s_add_u32 m0, 0x300, s46                                   // 000000003C88: 807C2EFF 00000300
	buffer_load_dword v20, s[4:7], 0 offen lds                 // 000000003C90: E0511000 80010014
	v_mfma_f32_16x16x16_bf16 v[36:39], a[64:65], a[8:9], v[36:39]// 000000003C98: D3E10024 1C921140
	s_add_u32 m0, 0x400, s46                                   // 000000003CA0: 807C2EFF 00000400
	buffer_load_dword v21, s[4:7], 0 offen lds                 // 000000003CA8: E0511000 80010015
	ds_read_b128 a[48:51], v25 offset:9344                     // 000000003CB0: DBFE2480 30000019
	ds_read_b128 a[52:55], v25 offset:9408                     // 000000003CB8: DBFE24C0 34000019
	v_mfma_f32_16x16x16_bf16 v[36:39], a[66:67], a[10:11], v[36:39]// 000000003CC0: D3E10024 1C921542
	s_add_u32 m0, 0x500, s46                                   // 000000003CC8: 807C2EFF 00000500
	buffer_load_dword v22, s[4:7], 0 offen lds                 // 000000003CD0: E0511000 80010016
	v_mfma_f32_16x16x16_bf16 v[36:39], a[68:69], a[12:13], v[36:39]// 000000003CD8: D3E10024 1C921944
	s_add_u32 m0, 0x600, s46                                   // 000000003CE0: 807C2EFF 00000600
	buffer_load_dword v23, s[4:7], 0 offen lds                 // 000000003CE8: E0511000 80010017
	ds_read_b128 a[56:59], v25 offset:9856                     // 000000003CF0: DBFE2680 38000019
	ds_read_b128 a[60:63], v25 offset:9920                     // 000000003CF8: DBFE26C0 3C000019
	v_mfma_f32_16x16x16_bf16 v[36:39], a[70:71], a[14:15], v[36:39]// 000000003D00: D3E10024 1C921D46
	s_add_u32 m0, 0x700, s46                                   // 000000003D08: 807C2EFF 00000700
	buffer_load_dword v24, s[4:7], 0 offen lds                 // 000000003D10: E0511000 80010018
	v_mfma_f32_16x16x16_bf16 v[40:43], a[64:65], a[16:17], v[40:43]// 000000003D18: D3E10028 1CA22140
	s_add_u32 s31, 0x100, s33                                  // 000000003D20: 801F21FF 00000100
	s_cmp_lt_u32 s31, s34                                      // 000000003D28: BF0A221F
	s_cselect_b32 s44, s44, 0                                  // 000000003D2C: 852C802C
	buffer_load_dwordx4 a[80:83], v26, s[8:11], 0 offen        // 000000003D30: E05C1000 8082501A
	s_add_u32 s4, s44, s4                                      // 000000003D38: 8004042C
	s_addc_u32 s5, 0, s5                                       // 000000003D3C: 82050580
	v_mfma_f32_16x16x16_bf16 v[40:43], a[66:67], a[18:19], v[40:43]// 000000003D40: D3E10028 1CA22542
	buffer_load_dwordx4 a[84:87], v27, s[8:11], 0 offen        // 000000003D48: E05C1000 8082541B
	v_mfma_f32_16x16x16_bf16 v[40:43], a[68:69], a[20:21], v[40:43]// 000000003D50: D3E10028 1CA22944
	s_add_u32 s31, 0xc0, s33                                   // 000000003D58: 801F21FF 000000C0
	s_cmp_lt_u32 s31, s34                                      // 000000003D60: BF0A221F
	s_cselect_b32 s45, s45, 0                                  // 000000003D64: 852D802D
	s_add_u32 s8, s45, s8                                      // 000000003D68: 8008082D
	s_addc_u32 s9, 0, s9                                       // 000000003D6C: 82090980
	v_mfma_f32_16x16x16_bf16 v[40:43], a[70:71], a[22:23], v[40:43]// 000000003D70: D3E10028 1CA22D46
	v_mfma_f32_16x16x16_bf16 v[44:47], a[64:65], a[24:25], v[44:47]// 000000003D78: D3E1002C 1CB23140
	v_mfma_f32_16x16x16_bf16 v[44:47], a[66:67], a[26:27], v[44:47]// 000000003D80: D3E1002C 1CB23542
	v_mfma_f32_16x16x16_bf16 v[44:47], a[68:69], a[28:29], v[44:47]// 000000003D88: D3E1002C 1CB23944
	v_mfma_f32_16x16x16_bf16 v[44:47], a[70:71], a[30:31], v[44:47]// 000000003D90: D3E1002C 1CB23D46
	s_addk_i32 s33, 0x40                                       // 000000003D98: B7210040
	s_cmp_lt_i32 s33, s34                                      // 000000003D9C: BF042221
	s_cbranch_scc0 label_06DE                                  // 000000003DA0: BF8401F5
	s_waitcnt vmcnt(10) lgkmcnt(0)                             // 000000003DA4: BF8C007A
	s_barrier                                                  // 000000003DA8: BF8A0000
	v_mfma_f32_16x16x16_bf16 v[32:35], a[72:73], a[32:33], v[32:35]// 000000003DAC: D3E10020 1C824148
	s_add_u32 m0, 0, s47                                       // 000000003DB4: 807C2F80
	buffer_load_dword v17, s[4:7], 0 offen lds                 // 000000003DB8: E0511000 80010011
	ds_read_b128 a[0:3], v25 offset:16640                      // 000000003DC0: DBFE4100 00000019
	ds_read_b128 a[4:7], v25 offset:16704                      // 000000003DC8: DBFE4140 04000019
	v_mfma_f32_16x16x16_bf16 v[32:35], a[74:75], a[34:35], v[32:35]// 000000003DD0: D3E10020 1C82454A
	s_add_u32 m0, 0x100, s47                                   // 000000003DD8: 807C2FFF 00000100
	buffer_load_dword v18, s[4:7], 0 offen lds                 // 000000003DE0: E0511000 80010012
	v_mfma_f32_16x16x16_bf16 v[32:35], a[76:77], a[36:37], v[32:35]// 000000003DE8: D3E10020 1C82494C
	s_add_u32 m0, 0x200, s47                                   // 000000003DF0: 807C2FFF 00000200
	buffer_load_dword v19, s[4:7], 0 offen lds                 // 000000003DF8: E0511000 80010013
	ds_read_b128 a[8:11], v25 offset:17152                     // 000000003E00: DBFE4300 08000019
	ds_read_b128 a[12:15], v25 offset:17216                    // 000000003E08: DBFE4340 0C000019
	v_mfma_f32_16x16x16_bf16 v[32:35], a[78:79], a[38:39], v[32:35]// 000000003E10: D3E10020 1C824D4E
	s_add_u32 m0, 0x300, s47                                   // 000000003E18: 807C2FFF 00000300
	buffer_load_dword v20, s[4:7], 0 offen lds                 // 000000003E20: E0511000 80010014
	v_mfma_f32_16x16x16_bf16 v[36:39], a[72:73], a[40:41], v[36:39]// 000000003E28: D3E10024 1C925148
	s_add_u32 m0, 0x400, s47                                   // 000000003E30: 807C2FFF 00000400
	buffer_load_dword v21, s[4:7], 0 offen lds                 // 000000003E38: E0511000 80010015
	ds_read_b128 a[16:19], v25 offset:17664                    // 000000003E40: DBFE4500 10000019
	ds_read_b128 a[20:23], v25 offset:17728                    // 000000003E48: DBFE4540 14000019
	v_mfma_f32_16x16x16_bf16 v[36:39], a[74:75], a[42:43], v[36:39]// 000000003E50: D3E10024 1C92554A
	s_add_u32 m0, 0x500, s47                                   // 000000003E58: 807C2FFF 00000500
	buffer_load_dword v22, s[4:7], 0 offen lds                 // 000000003E60: E0511000 80010016
	v_mfma_f32_16x16x16_bf16 v[36:39], a[76:77], a[44:45], v[36:39]// 000000003E68: D3E10024 1C92594C
	s_add_u32 m0, 0x600, s47                                   // 000000003E70: 807C2FFF 00000600
	buffer_load_dword v23, s[4:7], 0 offen lds                 // 000000003E78: E0511000 80010017
	ds_read_b128 a[24:27], v25 offset:18176                    // 000000003E80: DBFE4700 18000019
	ds_read_b128 a[28:31], v25 offset:18240                    // 000000003E88: DBFE4740 1C000019
	v_mfma_f32_16x16x16_bf16 v[36:39], a[78:79], a[46:47], v[36:39]// 000000003E90: D3E10024 1C925D4E
	s_add_u32 m0, 0x700, s47                                   // 000000003E98: 807C2FFF 00000700
	buffer_load_dword v24, s[4:7], 0 offen lds                 // 000000003EA0: E0511000 80010018
	v_mfma_f32_16x16x16_bf16 v[40:43], a[72:73], a[48:49], v[40:43]// 000000003EA8: D3E10028 1CA26148
	s_add_u32 s31, 0x100, s33                                  // 000000003EB0: 801F21FF 00000100
	s_cmp_lt_u32 s31, s34                                      // 000000003EB8: BF0A221F
	s_cselect_b32 s44, s44, 0                                  // 000000003EBC: 852C802C
	buffer_load_dwordx4 a[64:67], v26, s[8:11], 0 offen        // 000000003EC0: E05C1000 8082401A
	s_add_u32 s4, s44, s4                                      // 000000003EC8: 8004042C
	s_addc_u32 s5, 0, s5                                       // 000000003ECC: 82050580
	v_mfma_f32_16x16x16_bf16 v[40:43], a[74:75], a[50:51], v[40:43]// 000000003ED0: D3E10028 1CA2654A
	buffer_load_dwordx4 a[68:71], v27, s[8:11], 0 offen        // 000000003ED8: E05C1000 8082441B
	v_mfma_f32_16x16x16_bf16 v[40:43], a[76:77], a[52:53], v[40:43]// 000000003EE0: D3E10028 1CA2694C
	s_add_u32 s31, 0xc0, s33                                   // 000000003EE8: 801F21FF 000000C0
	s_cmp_lt_u32 s31, s34                                      // 000000003EF0: BF0A221F
	s_cselect_b32 s45, s45, 0                                  // 000000003EF4: 852D802D
	s_add_u32 s8, s45, s8                                      // 000000003EF8: 8008082D
	s_addc_u32 s9, 0, s9                                       // 000000003EFC: 82090980
	v_mfma_f32_16x16x16_bf16 v[40:43], a[78:79], a[54:55], v[40:43]// 000000003F00: D3E10028 1CA26D4E
	v_mfma_f32_16x16x16_bf16 v[44:47], a[72:73], a[56:57], v[44:47]// 000000003F08: D3E1002C 1CB27148
	v_mfma_f32_16x16x16_bf16 v[44:47], a[74:75], a[58:59], v[44:47]// 000000003F10: D3E1002C 1CB2754A
	v_mfma_f32_16x16x16_bf16 v[44:47], a[76:77], a[60:61], v[44:47]// 000000003F18: D3E1002C 1CB2794C
	v_mfma_f32_16x16x16_bf16 v[44:47], a[78:79], a[62:63], v[44:47]// 000000003F20: D3E1002C 1CB27D4E
	s_addk_i32 s33, 0x40                                       // 000000003F28: B7210040
	s_cmp_lt_i32 s33, s34                                      // 000000003F2C: BF042221
	s_cbranch_scc0 label_06DE                                  // 000000003F30: BF840191
	s_waitcnt vmcnt(10) lgkmcnt(0)                             // 000000003F34: BF8C007A
	s_barrier                                                  // 000000003F38: BF8A0000
	v_mfma_f32_16x16x16_bf16 v[32:35], a[80:81], a[0:1], v[32:35]// 000000003F3C: D3E10020 1C820150
	s_add_u32 m0, 0, s48                                       // 000000003F44: 807C3080
	buffer_load_dword v17, s[4:7], 0 offen lds                 // 000000003F48: E0511000 80010011
	ds_read_b128 a[32:35], v25                                 // 000000003F50: DBFE0000 20000019
	ds_read_b128 a[36:39], v25 offset:64                       // 000000003F58: DBFE0040 24000019
	v_mfma_f32_16x16x16_bf16 v[32:35], a[82:83], a[2:3], v[32:35]// 000000003F60: D3E10020 1C820552
	s_add_u32 m0, 0x100, s48                                   // 000000003F68: 807C30FF 00000100
	buffer_load_dword v18, s[4:7], 0 offen lds                 // 000000003F70: E0511000 80010012
	v_mfma_f32_16x16x16_bf16 v[32:35], a[84:85], a[4:5], v[32:35]// 000000003F78: D3E10020 1C820954
	s_add_u32 m0, 0x200, s48                                   // 000000003F80: 807C30FF 00000200
	buffer_load_dword v19, s[4:7], 0 offen lds                 // 000000003F88: E0511000 80010013
	ds_read_b128 a[40:43], v25 offset:512                      // 000000003F90: DBFE0200 28000019
	ds_read_b128 a[44:47], v25 offset:576                      // 000000003F98: DBFE0240 2C000019
	v_mfma_f32_16x16x16_bf16 v[32:35], a[86:87], a[6:7], v[32:35]// 000000003FA0: D3E10020 1C820D56
	s_add_u32 m0, 0x300, s48                                   // 000000003FA8: 807C30FF 00000300
	buffer_load_dword v20, s[4:7], 0 offen lds                 // 000000003FB0: E0511000 80010014
	v_mfma_f32_16x16x16_bf16 v[36:39], a[80:81], a[8:9], v[36:39]// 000000003FB8: D3E10024 1C921150
	s_add_u32 m0, 0x400, s48                                   // 000000003FC0: 807C30FF 00000400
	buffer_load_dword v21, s[4:7], 0 offen lds                 // 000000003FC8: E0511000 80010015
	ds_read_b128 a[48:51], v25 offset:1024                     // 000000003FD0: DBFE0400 30000019
	ds_read_b128 a[52:55], v25 offset:1088                     // 000000003FD8: DBFE0440 34000019
	v_mfma_f32_16x16x16_bf16 v[36:39], a[82:83], a[10:11], v[36:39]// 000000003FE0: D3E10024 1C921552
	s_add_u32 m0, 0x500, s48                                   // 000000003FE8: 807C30FF 00000500
	buffer_load_dword v22, s[4:7], 0 offen lds                 // 000000003FF0: E0511000 80010016
	v_mfma_f32_16x16x16_bf16 v[36:39], a[84:85], a[12:13], v[36:39]// 000000003FF8: D3E10024 1C921954
	s_add_u32 m0, 0x600, s48                                   // 000000004000: 807C30FF 00000600
	buffer_load_dword v23, s[4:7], 0 offen lds                 // 000000004008: E0511000 80010017
	ds_read_b128 a[56:59], v25 offset:1536                     // 000000004010: DBFE0600 38000019
	ds_read_b128 a[60:63], v25 offset:1600                     // 000000004018: DBFE0640 3C000019
	v_mfma_f32_16x16x16_bf16 v[36:39], a[86:87], a[14:15], v[36:39]// 000000004020: D3E10024 1C921D56
	s_add_u32 m0, 0x700, s48                                   // 000000004028: 807C30FF 00000700
	buffer_load_dword v24, s[4:7], 0 offen lds                 // 000000004030: E0511000 80010018
	v_mfma_f32_16x16x16_bf16 v[40:43], a[80:81], a[16:17], v[40:43]// 000000004038: D3E10028 1CA22150
	s_add_u32 s31, 0x100, s33                                  // 000000004040: 801F21FF 00000100
	s_cmp_lt_u32 s31, s34                                      // 000000004048: BF0A221F
	s_cselect_b32 s44, s44, 0                                  // 00000000404C: 852C802C
	buffer_load_dwordx4 a[72:75], v26, s[8:11], 0 offen        // 000000004050: E05C1000 8082481A
	s_add_u32 s4, s44, s4                                      // 000000004058: 8004042C
	s_addc_u32 s5, 0, s5                                       // 00000000405C: 82050580
	v_mfma_f32_16x16x16_bf16 v[40:43], a[82:83], a[18:19], v[40:43]// 000000004060: D3E10028 1CA22552
	buffer_load_dwordx4 a[76:79], v27, s[8:11], 0 offen        // 000000004068: E05C1000 80824C1B
	v_mfma_f32_16x16x16_bf16 v[40:43], a[84:85], a[20:21], v[40:43]// 000000004070: D3E10028 1CA22954
	s_add_u32 s31, 0xc0, s33                                   // 000000004078: 801F21FF 000000C0
	s_cmp_lt_u32 s31, s34                                      // 000000004080: BF0A221F
	s_cselect_b32 s45, s45, 0                                  // 000000004084: 852D802D
	s_add_u32 s8, s45, s8                                      // 000000004088: 8008082D
	s_addc_u32 s9, 0, s9                                       // 00000000408C: 82090980
	v_mfma_f32_16x16x16_bf16 v[40:43], a[86:87], a[22:23], v[40:43]// 000000004090: D3E10028 1CA22D56
	v_mfma_f32_16x16x16_bf16 v[44:47], a[80:81], a[24:25], v[44:47]// 000000004098: D3E1002C 1CB23150
	v_mfma_f32_16x16x16_bf16 v[44:47], a[82:83], a[26:27], v[44:47]// 0000000040A0: D3E1002C 1CB23552
	v_mfma_f32_16x16x16_bf16 v[44:47], a[84:85], a[28:29], v[44:47]// 0000000040A8: D3E1002C 1CB23954
	v_mfma_f32_16x16x16_bf16 v[44:47], a[86:87], a[30:31], v[44:47]// 0000000040B0: D3E1002C 1CB23D56
	s_addk_i32 s33, 0x40                                       // 0000000040B8: B7210040
	s_cmp_lt_i32 s33, s34                                      // 0000000040BC: BF042221
	s_cbranch_scc0 label_06DE                                  // 0000000040C0: BF84012D
	s_waitcnt vmcnt(10) lgkmcnt(0)                             // 0000000040C4: BF8C007A
	s_barrier                                                  // 0000000040C8: BF8A0000
	v_mfma_f32_16x16x16_bf16 v[32:35], a[64:65], a[32:33], v[32:35]// 0000000040CC: D3E10020 1C824140
	s_add_u32 m0, 0, s46                                       // 0000000040D4: 807C2E80
	buffer_load_dword v17, s[4:7], 0 offen lds                 // 0000000040D8: E0511000 80010011
	ds_read_b128 a[0:3], v25 offset:8320                       // 0000000040E0: DBFE2080 00000019
	ds_read_b128 a[4:7], v25 offset:8384                       // 0000000040E8: DBFE20C0 04000019
	v_mfma_f32_16x16x16_bf16 v[32:35], a[66:67], a[34:35], v[32:35]// 0000000040F0: D3E10020 1C824542
	s_add_u32 m0, 0x100, s46                                   // 0000000040F8: 807C2EFF 00000100
	buffer_load_dword v18, s[4:7], 0 offen lds                 // 000000004100: E0511000 80010012
	v_mfma_f32_16x16x16_bf16 v[32:35], a[68:69], a[36:37], v[32:35]// 000000004108: D3E10020 1C824944
	s_add_u32 m0, 0x200, s46                                   // 000000004110: 807C2EFF 00000200
	buffer_load_dword v19, s[4:7], 0 offen lds                 // 000000004118: E0511000 80010013
	ds_read_b128 a[8:11], v25 offset:8832                      // 000000004120: DBFE2280 08000019
	ds_read_b128 a[12:15], v25 offset:8896                     // 000000004128: DBFE22C0 0C000019
	v_mfma_f32_16x16x16_bf16 v[32:35], a[70:71], a[38:39], v[32:35]// 000000004130: D3E10020 1C824D46
	s_add_u32 m0, 0x300, s46                                   // 000000004138: 807C2EFF 00000300
	buffer_load_dword v20, s[4:7], 0 offen lds                 // 000000004140: E0511000 80010014
	v_mfma_f32_16x16x16_bf16 v[36:39], a[64:65], a[40:41], v[36:39]// 000000004148: D3E10024 1C925140
	s_add_u32 m0, 0x400, s46                                   // 000000004150: 807C2EFF 00000400
	buffer_load_dword v21, s[4:7], 0 offen lds                 // 000000004158: E0511000 80010015
	ds_read_b128 a[16:19], v25 offset:9344                     // 000000004160: DBFE2480 10000019
	ds_read_b128 a[20:23], v25 offset:9408                     // 000000004168: DBFE24C0 14000019
	v_mfma_f32_16x16x16_bf16 v[36:39], a[66:67], a[42:43], v[36:39]// 000000004170: D3E10024 1C925542
	s_add_u32 m0, 0x500, s46                                   // 000000004178: 807C2EFF 00000500
	buffer_load_dword v22, s[4:7], 0 offen lds                 // 000000004180: E0511000 80010016
	v_mfma_f32_16x16x16_bf16 v[36:39], a[68:69], a[44:45], v[36:39]// 000000004188: D3E10024 1C925944
	s_add_u32 m0, 0x600, s46                                   // 000000004190: 807C2EFF 00000600
	buffer_load_dword v23, s[4:7], 0 offen lds                 // 000000004198: E0511000 80010017
	ds_read_b128 a[24:27], v25 offset:9856                     // 0000000041A0: DBFE2680 18000019
	ds_read_b128 a[28:31], v25 offset:9920                     // 0000000041A8: DBFE26C0 1C000019
	v_mfma_f32_16x16x16_bf16 v[36:39], a[70:71], a[46:47], v[36:39]// 0000000041B0: D3E10024 1C925D46
	s_add_u32 m0, 0x700, s46                                   // 0000000041B8: 807C2EFF 00000700
	buffer_load_dword v24, s[4:7], 0 offen lds                 // 0000000041C0: E0511000 80010018
	v_mfma_f32_16x16x16_bf16 v[40:43], a[64:65], a[48:49], v[40:43]// 0000000041C8: D3E10028 1CA26140
	s_add_u32 s31, 0x100, s33                                  // 0000000041D0: 801F21FF 00000100
	s_cmp_lt_u32 s31, s34                                      // 0000000041D8: BF0A221F
	s_cselect_b32 s44, s44, 0                                  // 0000000041DC: 852C802C
	buffer_load_dwordx4 a[80:83], v26, s[8:11], 0 offen        // 0000000041E0: E05C1000 8082501A
	s_add_u32 s4, s44, s4                                      // 0000000041E8: 8004042C
	s_addc_u32 s5, 0, s5                                       // 0000000041EC: 82050580
	v_mfma_f32_16x16x16_bf16 v[40:43], a[66:67], a[50:51], v[40:43]// 0000000041F0: D3E10028 1CA26542
	buffer_load_dwordx4 a[84:87], v27, s[8:11], 0 offen        // 0000000041F8: E05C1000 8082541B
	v_mfma_f32_16x16x16_bf16 v[40:43], a[68:69], a[52:53], v[40:43]// 000000004200: D3E10028 1CA26944
	s_add_u32 s31, 0xc0, s33                                   // 000000004208: 801F21FF 000000C0
	s_cmp_lt_u32 s31, s34                                      // 000000004210: BF0A221F
	s_cselect_b32 s45, s45, 0                                  // 000000004214: 852D802D
	s_add_u32 s8, s45, s8                                      // 000000004218: 8008082D
	s_addc_u32 s9, 0, s9                                       // 00000000421C: 82090980
	v_mfma_f32_16x16x16_bf16 v[40:43], a[70:71], a[54:55], v[40:43]// 000000004220: D3E10028 1CA26D46
	v_mfma_f32_16x16x16_bf16 v[44:47], a[64:65], a[56:57], v[44:47]// 000000004228: D3E1002C 1CB27140
	v_mfma_f32_16x16x16_bf16 v[44:47], a[66:67], a[58:59], v[44:47]// 000000004230: D3E1002C 1CB27542
	v_mfma_f32_16x16x16_bf16 v[44:47], a[68:69], a[60:61], v[44:47]// 000000004238: D3E1002C 1CB27944
	v_mfma_f32_16x16x16_bf16 v[44:47], a[70:71], a[62:63], v[44:47]// 000000004240: D3E1002C 1CB27D46
	s_addk_i32 s33, 0x40                                       // 000000004248: B7210040
	s_cmp_lt_i32 s33, s34                                      // 00000000424C: BF042221
	s_cbranch_scc0 label_06DE                                  // 000000004250: BF8400C9
	s_waitcnt vmcnt(10) lgkmcnt(0)                             // 000000004254: BF8C007A
	s_barrier                                                  // 000000004258: BF8A0000
	v_mfma_f32_16x16x16_bf16 v[32:35], a[72:73], a[0:1], v[32:35]// 00000000425C: D3E10020 1C820148
	s_add_u32 m0, 0, s47                                       // 000000004264: 807C2F80
	buffer_load_dword v17, s[4:7], 0 offen lds                 // 000000004268: E0511000 80010011
	ds_read_b128 a[32:35], v25 offset:16640                    // 000000004270: DBFE4100 20000019
	ds_read_b128 a[36:39], v25 offset:16704                    // 000000004278: DBFE4140 24000019
	v_mfma_f32_16x16x16_bf16 v[32:35], a[74:75], a[2:3], v[32:35]// 000000004280: D3E10020 1C82054A
	s_add_u32 m0, 0x100, s47                                   // 000000004288: 807C2FFF 00000100
	buffer_load_dword v18, s[4:7], 0 offen lds                 // 000000004290: E0511000 80010012
	v_mfma_f32_16x16x16_bf16 v[32:35], a[76:77], a[4:5], v[32:35]// 000000004298: D3E10020 1C82094C
	s_add_u32 m0, 0x200, s47                                   // 0000000042A0: 807C2FFF 00000200
	buffer_load_dword v19, s[4:7], 0 offen lds                 // 0000000042A8: E0511000 80010013
	ds_read_b128 a[40:43], v25 offset:17152                    // 0000000042B0: DBFE4300 28000019
	ds_read_b128 a[44:47], v25 offset:17216                    // 0000000042B8: DBFE4340 2C000019
	v_mfma_f32_16x16x16_bf16 v[32:35], a[78:79], a[6:7], v[32:35]// 0000000042C0: D3E10020 1C820D4E
	s_add_u32 m0, 0x300, s47                                   // 0000000042C8: 807C2FFF 00000300
	buffer_load_dword v20, s[4:7], 0 offen lds                 // 0000000042D0: E0511000 80010014
	v_mfma_f32_16x16x16_bf16 v[36:39], a[72:73], a[8:9], v[36:39]// 0000000042D8: D3E10024 1C921148
	s_add_u32 m0, 0x400, s47                                   // 0000000042E0: 807C2FFF 00000400
	buffer_load_dword v21, s[4:7], 0 offen lds                 // 0000000042E8: E0511000 80010015
	ds_read_b128 a[48:51], v25 offset:17664                    // 0000000042F0: DBFE4500 30000019
	ds_read_b128 a[52:55], v25 offset:17728                    // 0000000042F8: DBFE4540 34000019
	v_mfma_f32_16x16x16_bf16 v[36:39], a[74:75], a[10:11], v[36:39]// 000000004300: D3E10024 1C92154A
	s_add_u32 m0, 0x500, s47                                   // 000000004308: 807C2FFF 00000500
	buffer_load_dword v22, s[4:7], 0 offen lds                 // 000000004310: E0511000 80010016
	v_mfma_f32_16x16x16_bf16 v[36:39], a[76:77], a[12:13], v[36:39]// 000000004318: D3E10024 1C92194C
	s_add_u32 m0, 0x600, s47                                   // 000000004320: 807C2FFF 00000600
	buffer_load_dword v23, s[4:7], 0 offen lds                 // 000000004328: E0511000 80010017
	ds_read_b128 a[56:59], v25 offset:18176                    // 000000004330: DBFE4700 38000019
	ds_read_b128 a[60:63], v25 offset:18240                    // 000000004338: DBFE4740 3C000019
	v_mfma_f32_16x16x16_bf16 v[36:39], a[78:79], a[14:15], v[36:39]// 000000004340: D3E10024 1C921D4E
	s_add_u32 m0, 0x700, s47                                   // 000000004348: 807C2FFF 00000700
	buffer_load_dword v24, s[4:7], 0 offen lds                 // 000000004350: E0511000 80010018
	v_mfma_f32_16x16x16_bf16 v[40:43], a[72:73], a[16:17], v[40:43]// 000000004358: D3E10028 1CA22148
	s_add_u32 s31, 0x100, s33                                  // 000000004360: 801F21FF 00000100
	s_cmp_lt_u32 s31, s34                                      // 000000004368: BF0A221F
	s_cselect_b32 s44, s44, 0                                  // 00000000436C: 852C802C
	buffer_load_dwordx4 a[64:67], v26, s[8:11], 0 offen        // 000000004370: E05C1000 8082401A
	s_add_u32 s4, s44, s4                                      // 000000004378: 8004042C
	s_addc_u32 s5, 0, s5                                       // 00000000437C: 82050580
	v_mfma_f32_16x16x16_bf16 v[40:43], a[74:75], a[18:19], v[40:43]// 000000004380: D3E10028 1CA2254A
	buffer_load_dwordx4 a[68:71], v27, s[8:11], 0 offen        // 000000004388: E05C1000 8082441B
	v_mfma_f32_16x16x16_bf16 v[40:43], a[76:77], a[20:21], v[40:43]// 000000004390: D3E10028 1CA2294C
	s_add_u32 s31, 0xc0, s33                                   // 000000004398: 801F21FF 000000C0
	s_cmp_lt_u32 s31, s34                                      // 0000000043A0: BF0A221F
	s_cselect_b32 s45, s45, 0                                  // 0000000043A4: 852D802D
	s_add_u32 s8, s45, s8                                      // 0000000043A8: 8008082D
	s_addc_u32 s9, 0, s9                                       // 0000000043AC: 82090980
	v_mfma_f32_16x16x16_bf16 v[40:43], a[78:79], a[22:23], v[40:43]// 0000000043B0: D3E10028 1CA22D4E
	v_mfma_f32_16x16x16_bf16 v[44:47], a[72:73], a[24:25], v[44:47]// 0000000043B8: D3E1002C 1CB23148
	v_mfma_f32_16x16x16_bf16 v[44:47], a[74:75], a[26:27], v[44:47]// 0000000043C0: D3E1002C 1CB2354A
	v_mfma_f32_16x16x16_bf16 v[44:47], a[76:77], a[28:29], v[44:47]// 0000000043C8: D3E1002C 1CB2394C
	v_mfma_f32_16x16x16_bf16 v[44:47], a[78:79], a[30:31], v[44:47]// 0000000043D0: D3E1002C 1CB23D4E
	s_addk_i32 s33, 0x40                                       // 0000000043D8: B7210040
	s_cmp_lt_i32 s33, s34                                      // 0000000043DC: BF042221
	s_cbranch_scc0 label_06DE                                  // 0000000043E0: BF840065
	s_waitcnt vmcnt(10) lgkmcnt(0)                             // 0000000043E4: BF8C007A
	s_barrier                                                  // 0000000043E8: BF8A0000
	v_mfma_f32_16x16x16_bf16 v[32:35], a[80:81], a[32:33], v[32:35]// 0000000043EC: D3E10020 1C824150
	s_add_u32 m0, 0, s48                                       // 0000000043F4: 807C3080
	buffer_load_dword v17, s[4:7], 0 offen lds                 // 0000000043F8: E0511000 80010011
	ds_read_b128 a[0:3], v25                                   // 000000004400: DBFE0000 00000019
	ds_read_b128 a[4:7], v25 offset:64                         // 000000004408: DBFE0040 04000019
	v_mfma_f32_16x16x16_bf16 v[32:35], a[82:83], a[34:35], v[32:35]// 000000004410: D3E10020 1C824552
	s_add_u32 m0, 0x100, s48                                   // 000000004418: 807C30FF 00000100
	buffer_load_dword v18, s[4:7], 0 offen lds                 // 000000004420: E0511000 80010012
	v_mfma_f32_16x16x16_bf16 v[32:35], a[84:85], a[36:37], v[32:35]// 000000004428: D3E10020 1C824954
	s_add_u32 m0, 0x200, s48                                   // 000000004430: 807C30FF 00000200
	buffer_load_dword v19, s[4:7], 0 offen lds                 // 000000004438: E0511000 80010013
	ds_read_b128 a[8:11], v25 offset:512                       // 000000004440: DBFE0200 08000019
	ds_read_b128 a[12:15], v25 offset:576                      // 000000004448: DBFE0240 0C000019
	v_mfma_f32_16x16x16_bf16 v[32:35], a[86:87], a[38:39], v[32:35]// 000000004450: D3E10020 1C824D56
	s_add_u32 m0, 0x300, s48                                   // 000000004458: 807C30FF 00000300
	buffer_load_dword v20, s[4:7], 0 offen lds                 // 000000004460: E0511000 80010014
	v_mfma_f32_16x16x16_bf16 v[36:39], a[80:81], a[40:41], v[36:39]// 000000004468: D3E10024 1C925150
	s_add_u32 m0, 0x400, s48                                   // 000000004470: 807C30FF 00000400
	buffer_load_dword v21, s[4:7], 0 offen lds                 // 000000004478: E0511000 80010015
	ds_read_b128 a[16:19], v25 offset:1024                     // 000000004480: DBFE0400 10000019
	ds_read_b128 a[20:23], v25 offset:1088                     // 000000004488: DBFE0440 14000019
	v_mfma_f32_16x16x16_bf16 v[36:39], a[82:83], a[42:43], v[36:39]// 000000004490: D3E10024 1C925552
	s_add_u32 m0, 0x500, s48                                   // 000000004498: 807C30FF 00000500
	buffer_load_dword v22, s[4:7], 0 offen lds                 // 0000000044A0: E0511000 80010016
	v_mfma_f32_16x16x16_bf16 v[36:39], a[84:85], a[44:45], v[36:39]// 0000000044A8: D3E10024 1C925954
	s_add_u32 m0, 0x600, s48                                   // 0000000044B0: 807C30FF 00000600
	buffer_load_dword v23, s[4:7], 0 offen lds                 // 0000000044B8: E0511000 80010017
	ds_read_b128 a[24:27], v25 offset:1536                     // 0000000044C0: DBFE0600 18000019
	ds_read_b128 a[28:31], v25 offset:1600                     // 0000000044C8: DBFE0640 1C000019
	v_mfma_f32_16x16x16_bf16 v[36:39], a[86:87], a[46:47], v[36:39]// 0000000044D0: D3E10024 1C925D56
	s_add_u32 m0, 0x700, s48                                   // 0000000044D8: 807C30FF 00000700
	buffer_load_dword v24, s[4:7], 0 offen lds                 // 0000000044E0: E0511000 80010018
	v_mfma_f32_16x16x16_bf16 v[40:43], a[80:81], a[48:49], v[40:43]// 0000000044E8: D3E10028 1CA26150
	s_add_u32 s31, 0x100, s33                                  // 0000000044F0: 801F21FF 00000100
	s_cmp_lt_u32 s31, s34                                      // 0000000044F8: BF0A221F
	s_cselect_b32 s44, s44, 0                                  // 0000000044FC: 852C802C
	buffer_load_dwordx4 a[72:75], v26, s[8:11], 0 offen        // 000000004500: E05C1000 8082481A
	s_add_u32 s4, s44, s4                                      // 000000004508: 8004042C
	s_addc_u32 s5, 0, s5                                       // 00000000450C: 82050580
	v_mfma_f32_16x16x16_bf16 v[40:43], a[82:83], a[50:51], v[40:43]// 000000004510: D3E10028 1CA26552
	buffer_load_dwordx4 a[76:79], v27, s[8:11], 0 offen        // 000000004518: E05C1000 80824C1B
	v_mfma_f32_16x16x16_bf16 v[40:43], a[84:85], a[52:53], v[40:43]// 000000004520: D3E10028 1CA26954
	s_add_u32 s31, 0xc0, s33                                   // 000000004528: 801F21FF 000000C0
	s_cmp_lt_u32 s31, s34                                      // 000000004530: BF0A221F
	s_cselect_b32 s45, s45, 0                                  // 000000004534: 852D802D
	s_add_u32 s8, s45, s8                                      // 000000004538: 8008082D
	s_addc_u32 s9, 0, s9                                       // 00000000453C: 82090980
	v_mfma_f32_16x16x16_bf16 v[40:43], a[86:87], a[54:55], v[40:43]// 000000004540: D3E10028 1CA26D56
	v_mfma_f32_16x16x16_bf16 v[44:47], a[80:81], a[56:57], v[44:47]// 000000004548: D3E1002C 1CB27150
	v_mfma_f32_16x16x16_bf16 v[44:47], a[82:83], a[58:59], v[44:47]// 000000004550: D3E1002C 1CB27552
	v_mfma_f32_16x16x16_bf16 v[44:47], a[84:85], a[60:61], v[44:47]// 000000004558: D3E1002C 1CB27954
	v_mfma_f32_16x16x16_bf16 v[44:47], a[86:87], a[62:63], v[44:47]// 000000004560: D3E1002C 1CB27D56
	s_addk_i32 s33, 0x40                                       // 000000004568: B7210040
	s_cmp_lt_i32 s33, s34                                      // 00000000456C: BF042221
	s_cbranch_scc0 label_06DE                                  // 000000004570: BF840001
	s_branch label_0485                                        // 000000004574: BF82FDA7

0000000000004578 <label_06DE>:
	s_cmp_le_u32 s52, 1                                        // 000000004578: BF0B8134
	s_cbranch_scc1 label_0A79                                  // 00000000457C: BF850399
	s_mov_b32 s31, 64                                          // 000000004580: BE9F00C0
	s_cmp_lt_u32 s55, s31                                      // 000000004584: BF0A1F37
	s_cbranch_scc1 label_084C                                  // 000000004588: BF850169
	v_mov_b32_e32 v5, 0                                        // 00000000458C: 7E0A0280
	s_and_b32 s17, s17, 0xffff                                 // 000000004590: 8611FF11 0000FFFF
	s_cmp_lt_u32 s54, 1                                        // 000000004598: BF0A8136
	s_cbranch_scc0 label_0779                                  // 00000000459C: BF840091
	v_lshrrev_b32_e32 v4, 4, v0                                // 0000000045A0: 20080084
	v_mul_u32_u24_e32 v25, 0x44, v4                            // 0000000045A4: 103208FF 00000044
	v_and_b32_e32 v4, 15, v0                                   // 0000000045AC: 2608008F
	v_mul_lo_u32 v5, 4, v4                                     // 0000000045B0: D2850005 00020884
	v_add_u32_e32 v25, v5, v25                                 // 0000000045B8: 68323305
	s_mul_i32 s31, s24, 0x110                                  // 0000000045BC: 921FFF18 00000110
	v_add_u32_e32 v25, s31, v25                                // 0000000045C4: 6832321F
	v_lshlrev_b32_e32 v25, 2, v25                              // 0000000045C8: 24323282
	v_lshrrev_b32_e32 v4, 2, v0                                // 0000000045CC: 20080082
	v_mul_u32_u24_e32 v28, 0x44, v4                            // 0000000045D0: 103808FF 00000044
	v_and_b32_e32 v4, 3, v0                                    // 0000000045D8: 26080083
	v_add_u32_e32 v28, v4, v28                                 // 0000000045DC: 68383904
	s_mul_i32 s31, s24, 4                                      // 0000000045E0: 921F8418
	v_add_u32_e32 v28, s31, v28                                // 0000000045E4: 6838381F
	v_lshlrev_b32_e32 v28, 2, v28                              // 0000000045E8: 24383882
	s_waitcnt vmcnt(0) expcnt(0) lgkmcnt(0)                    // 0000000045EC: BF8C0000
	s_barrier                                                  // 0000000045F0: BF8A0000
	ds_write_b128 v25, v[32:35]                                // 0000000045F4: D9BE0000 00002019
	ds_write_b128 v25, v[36:39] offset:4352                    // 0000000045FC: D9BE1100 00002419
	ds_write_b128 v25, v[40:43] offset:8704                    // 000000004604: D9BE2200 00002819
	ds_write_b128 v25, v[44:47] offset:13056                   // 00000000460C: D9BE3300 00002C19
	s_waitcnt lgkmcnt(0)                                       // 000000004614: BF8CC07F
	s_barrier                                                  // 000000004618: BF8A0000
	ds_read_b32 v32, v28                                       // 00000000461C: D86C0000 2000001C
	ds_read_b32 v33, v28 offset:64                             // 000000004624: D86C0040 2100001C
	ds_read_b32 v34, v28 offset:128                            // 00000000462C: D86C0080 2200001C
	ds_read_b32 v35, v28 offset:192                            // 000000004634: D86C00C0 2300001C
	ds_read_b32 v36, v28 offset:4352                           // 00000000463C: D86C1100 2400001C
	ds_read_b32 v37, v28 offset:4416                           // 000000004644: D86C1140 2500001C
	ds_read_b32 v38, v28 offset:4480                           // 00000000464C: D86C1180 2600001C
	ds_read_b32 v39, v28 offset:4544                           // 000000004654: D86C11C0 2700001C
	ds_read_b32 v40, v28 offset:8704                           // 00000000465C: D86C2200 2800001C
	ds_read_b32 v41, v28 offset:8768                           // 000000004664: D86C2240 2900001C
	ds_read_b32 v42, v28 offset:8832                           // 00000000466C: D86C2280 2A00001C
	ds_read_b32 v43, v28 offset:8896                           // 000000004674: D86C22C0 2B00001C
	ds_read_b32 v44, v28 offset:13056                          // 00000000467C: D86C3300 2C00001C
	ds_read_b32 v45, v28 offset:13120                          // 000000004684: D86C3340 2D00001C
	ds_read_b32 v46, v28 offset:13184                          // 00000000468C: D86C3380 2E00001C
	ds_read_b32 v47, v28 offset:13248                          // 000000004694: D86C33C0 2F00001C
	s_waitcnt lgkmcnt(0)                                       // 00000000469C: BF8CC07F
	s_cmp_eq_u32 s24, 0                                        // 0000000046A0: BF068018
	s_cbranch_scc0 label_0730                                  // 0000000046A4: BF840006
	s_mov_b32 s31, 0                                           // 0000000046A8: BE9F0080

00000000000046ac <label_072B>:
	s_load_dword s32, s[40:41], s62 glc                        // 0000000046AC: C0010814 0000003E
	s_waitcnt lgkmcnt(0)                                       // 0000000046B4: BF8CC07F
	s_cmp_gt_u32 s32, s31                                      // 0000000046B8: BF081F20
	s_cbranch_scc0 label_072B                                  // 0000000046BC: BF84FFFB

00000000000046c0 <label_0730>:
	s_barrier                                                  // 0000000046C0: BF8A0000
	s_mul_i32 s31, s30, 4                                      // 0000000046C4: 921F841E
	v_mov_b32_e32 v4, v16                                      // 0000000046C8: 7E080310
	global_atomic_add_f32 v4, v32, s[16:17]                    // 0000000046CC: DD348000 00102004
	v_add_u32_e64 v4, v4, s31                                  // 0000000046D4: D1340004 00003F04
	global_atomic_add_f32 v4, v33, s[16:17]                    // 0000000046DC: DD348000 00102104
	v_add_u32_e64 v4, v4, s31                                  // 0000000046E4: D1340004 00003F04
	global_atomic_add_f32 v4, v34, s[16:17]                    // 0000000046EC: DD348000 00102204
	v_add_u32_e64 v4, v4, s31                                  // 0000000046F4: D1340004 00003F04
	global_atomic_add_f32 v4, v35, s[16:17]                    // 0000000046FC: DD348000 00102304
	v_add_u32_e64 v4, v4, s31                                  // 000000004704: D1340004 00003F04
	global_atomic_add_f32 v4, v36, s[16:17]                    // 00000000470C: DD348000 00102404
	v_add_u32_e64 v4, v4, s31                                  // 000000004714: D1340004 00003F04
	global_atomic_add_f32 v4, v37, s[16:17]                    // 00000000471C: DD348000 00102504
	v_add_u32_e64 v4, v4, s31                                  // 000000004724: D1340004 00003F04
	global_atomic_add_f32 v4, v38, s[16:17]                    // 00000000472C: DD348000 00102604
	v_add_u32_e64 v4, v4, s31                                  // 000000004734: D1340004 00003F04
	global_atomic_add_f32 v4, v39, s[16:17]                    // 00000000473C: DD348000 00102704
	v_add_u32_e64 v4, v4, s31                                  // 000000004744: D1340004 00003F04
	global_atomic_add_f32 v4, v40, s[16:17]                    // 00000000474C: DD348000 00102804
	v_add_u32_e64 v4, v4, s31                                  // 000000004754: D1340004 00003F04
	global_atomic_add_f32 v4, v41, s[16:17]                    // 00000000475C: DD348000 00102904
	v_add_u32_e64 v4, v4, s31                                  // 000000004764: D1340004 00003F04
	global_atomic_add_f32 v4, v42, s[16:17]                    // 00000000476C: DD348000 00102A04
	v_add_u32_e64 v4, v4, s31                                  // 000000004774: D1340004 00003F04
	global_atomic_add_f32 v4, v43, s[16:17]                    // 00000000477C: DD348000 00102B04
	v_add_u32_e64 v4, v4, s31                                  // 000000004784: D1340004 00003F04
	global_atomic_add_f32 v4, v44, s[16:17]                    // 00000000478C: DD348000 00102C04
	v_add_u32_e64 v4, v4, s31                                  // 000000004794: D1340004 00003F04
	global_atomic_add_f32 v4, v45, s[16:17]                    // 00000000479C: DD348000 00102D04
	v_add_u32_e64 v4, v4, s31                                  // 0000000047A4: D1340004 00003F04
	global_atomic_add_f32 v4, v46, s[16:17]                    // 0000000047AC: DD348000 00102E04
	v_add_u32_e64 v4, v4, s31                                  // 0000000047B4: D1340004 00003F04
	global_atomic_add_f32 v4, v47, s[16:17]                    // 0000000047BC: DD348000 00102F04
	v_add_u32_e64 v4, v4, s31                                  // 0000000047C4: D1340004 00003F04
	s_barrier                                                  // 0000000047CC: BF8A0000
	s_cmp_eq_u32 s24, 0                                        // 0000000047D0: BF068018
	s_cbranch_scc0 label_0AFC                                  // 0000000047D4: BF840386
	s_atomic_dec s52, s[40:41], s62                            // 0000000047D8: C2300D14 0000003E
	s_branch label_0AFC                                        // 0000000047E0: BF820383

00000000000047e4 <label_0779>:
	v_lshrrev_b32_e32 v4, 4, v0                                // 0000000047E4: 20080084
	v_mul_u32_u24_e32 v25, 34, v4                              // 0000000047E8: 103208A2
	v_and_b32_e32 v4, 15, v0                                   // 0000000047EC: 2608008F
	v_mul_lo_u32 v5, 2, v4                                     // 0000000047F0: D2850005 00020882
	v_add_u32_e32 v25, v5, v25                                 // 0000000047F8: 68323305
	s_mul_i32 s31, s24, 0x88                                   // 0000000047FC: 921FFF18 00000088
	v_add_u32_e32 v25, s31, v25                                // 000000004804: 6832321F
	v_lshlrev_b32_e32 v25, 2, v25                              // 000000004808: 24323282
	v_and_b32_e32 v4, 31, v0                                   // 00000000480C: 2608009F
	v_lshrrev_b32_e32 v5, 1, v4                                // 000000004810: 200A0881
	v_mul_u32_u24_e32 v28, 34, v5                              // 000000004814: 10380AA2
	v_and_b32_e32 v5, 1, v4                                    // 000000004818: 260A0881
	v_add_u32_e32 v28, v5, v28                                 // 00000000481C: 68383905
	v_lshrrev_b32_e32 v4, 5, v0                                // 000000004820: 20080085
	v_mul_u32_u24_e32 v4, 8, v4                                // 000000004824: 10080888
	v_add_u32_e32 v28, v4, v28                                 // 000000004828: 68383904
	s_mul_i32 s31, s24, 2                                      // 00000000482C: 921F8218
	v_add_u32_e32 v28, s31, v28                                // 000000004830: 6838381F
	v_lshlrev_b32_e32 v28, 2, v28                              // 000000004834: 24383882
	s_waitcnt vmcnt(0) expcnt(0) lgkmcnt(0)                    // 000000004838: BF8C0000
	s_barrier                                                  // 00000000483C: BF8A0000
	v_cmp_u_f32_e64 s[60:61], v32, v32                         // 000000004840: D048003C 00024120
	v_add3_u32 v8, v32, v11, 1                                 // 000000004848: D1FF0008 02061720
	v_cndmask_b32_e64 v4, v8, v10, s[60:61]                    // 000000004850: D1000004 00F21508
	v_cmp_u_f32_e64 s[60:61], v33, v33                         // 000000004858: D048003C 00024321
	v_add3_u32 v8, v33, v11, 1                                 // 000000004860: D1FF0008 02061721
	v_cndmask_b32_e64 v5, v8, v10, s[60:61]                    // 000000004868: D1000005 00F21508
	v_perm_b32 v48, v5, v4, s35                                // 000000004870: D1ED0030 008E0905
	v_cmp_u_f32_e64 s[60:61], v34, v34                         // 000000004878: D048003C 00024522
	v_add3_u32 v8, v34, v11, 1                                 // 000000004880: D1FF0008 02061722
	v_cndmask_b32_e64 v4, v8, v10, s[60:61]                    // 000000004888: D1000004 00F21508
	v_cmp_u_f32_e64 s[60:61], v35, v35                         // 000000004890: D048003C 00024723
	v_add3_u32 v8, v35, v11, 1                                 // 000000004898: D1FF0008 02061723
	v_cndmask_b32_e64 v5, v8, v10, s[60:61]                    // 0000000048A0: D1000005 00F21508
	v_perm_b32 v49, v5, v4, s35                                // 0000000048A8: D1ED0031 008E0905
	v_cmp_u_f32_e64 s[60:61], v36, v36                         // 0000000048B0: D048003C 00024924
	v_add3_u32 v8, v36, v11, 1                                 // 0000000048B8: D1FF0008 02061724
	v_cndmask_b32_e64 v4, v8, v10, s[60:61]                    // 0000000048C0: D1000004 00F21508
	v_cmp_u_f32_e64 s[60:61], v37, v37                         // 0000000048C8: D048003C 00024B25
	v_add3_u32 v8, v37, v11, 1                                 // 0000000048D0: D1FF0008 02061725
	v_cndmask_b32_e64 v5, v8, v10, s[60:61]                    // 0000000048D8: D1000005 00F21508
	v_perm_b32 v50, v5, v4, s35                                // 0000000048E0: D1ED0032 008E0905
	v_cmp_u_f32_e64 s[60:61], v38, v38                         // 0000000048E8: D048003C 00024D26
	v_add3_u32 v8, v38, v11, 1                                 // 0000000048F0: D1FF0008 02061726
	v_cndmask_b32_e64 v4, v8, v10, s[60:61]                    // 0000000048F8: D1000004 00F21508
	v_cmp_u_f32_e64 s[60:61], v39, v39                         // 000000004900: D048003C 00024F27
	v_add3_u32 v8, v39, v11, 1                                 // 000000004908: D1FF0008 02061727
	v_cndmask_b32_e64 v5, v8, v10, s[60:61]                    // 000000004910: D1000005 00F21508
	v_perm_b32 v51, v5, v4, s35                                // 000000004918: D1ED0033 008E0905
	v_cmp_u_f32_e64 s[60:61], v40, v40                         // 000000004920: D048003C 00025128
	v_add3_u32 v8, v40, v11, 1                                 // 000000004928: D1FF0008 02061728
	v_cndmask_b32_e64 v4, v8, v10, s[60:61]                    // 000000004930: D1000004 00F21508
	v_cmp_u_f32_e64 s[60:61], v41, v41                         // 000000004938: D048003C 00025329
	v_add3_u32 v8, v41, v11, 1                                 // 000000004940: D1FF0008 02061729
	v_cndmask_b32_e64 v5, v8, v10, s[60:61]                    // 000000004948: D1000005 00F21508
	v_perm_b32 v52, v5, v4, s35                                // 000000004950: D1ED0034 008E0905
	v_cmp_u_f32_e64 s[60:61], v42, v42                         // 000000004958: D048003C 0002552A
	v_add3_u32 v8, v42, v11, 1                                 // 000000004960: D1FF0008 0206172A
	v_cndmask_b32_e64 v4, v8, v10, s[60:61]                    // 000000004968: D1000004 00F21508
	v_cmp_u_f32_e64 s[60:61], v43, v43                         // 000000004970: D048003C 0002572B
	v_add3_u32 v8, v43, v11, 1                                 // 000000004978: D1FF0008 0206172B
	v_cndmask_b32_e64 v5, v8, v10, s[60:61]                    // 000000004980: D1000005 00F21508
	v_perm_b32 v53, v5, v4, s35                                // 000000004988: D1ED0035 008E0905
	v_cmp_u_f32_e64 s[60:61], v44, v44                         // 000000004990: D048003C 0002592C
	v_add3_u32 v8, v44, v11, 1                                 // 000000004998: D1FF0008 0206172C
	v_cndmask_b32_e64 v4, v8, v10, s[60:61]                    // 0000000049A0: D1000004 00F21508
	v_cmp_u_f32_e64 s[60:61], v45, v45                         // 0000000049A8: D048003C 00025B2D
	v_add3_u32 v8, v45, v11, 1                                 // 0000000049B0: D1FF0008 0206172D
	v_cndmask_b32_e64 v5, v8, v10, s[60:61]                    // 0000000049B8: D1000005 00F21508
	v_perm_b32 v54, v5, v4, s35                                // 0000000049C0: D1ED0036 008E0905
	v_cmp_u_f32_e64 s[60:61], v46, v46                         // 0000000049C8: D048003C 00025D2E
	v_add3_u32 v8, v46, v11, 1                                 // 0000000049D0: D1FF0008 0206172E
	v_cndmask_b32_e64 v4, v8, v10, s[60:61]                    // 0000000049D8: D1000004 00F21508
	v_cmp_u_f32_e64 s[60:61], v47, v47                         // 0000000049E0: D048003C 00025F2F
	v_add3_u32 v8, v47, v11, 1                                 // 0000000049E8: D1FF0008 0206172F
	v_cndmask_b32_e64 v5, v8, v10, s[60:61]                    // 0000000049F0: D1000005 00F21508
	v_perm_b32 v55, v5, v4, s35                                // 0000000049F8: D1ED0037 008E0905
	ds_write_b64 v25, v[48:49]                                 // 000000004A00: D89A0000 00003019
	ds_write_b64 v25, v[50:51] offset:2176                     // 000000004A08: D89A0880 00003219
	ds_write_b64 v25, v[52:53] offset:4352                     // 000000004A10: D89A1100 00003419
	ds_write_b64 v25, v[54:55] offset:6528                     // 000000004A18: D89A1980 00003619
	s_waitcnt lgkmcnt(0)                                       // 000000004A20: BF8CC07F
	s_barrier                                                  // 000000004A24: BF8A0000
	ds_read_b32 v48, v28                                       // 000000004A28: D86C0000 3000001C
	ds_read_b32 v49, v28 offset:64                             // 000000004A30: D86C0040 3100001C
	ds_read_b32 v50, v28 offset:2176                           // 000000004A38: D86C0880 3200001C
	ds_read_b32 v51, v28 offset:2240                           // 000000004A40: D86C08C0 3300001C
	ds_read_b32 v52, v28 offset:4352                           // 000000004A48: D86C1100 3400001C
	ds_read_b32 v53, v28 offset:4416                           // 000000004A50: D86C1140 3500001C
	ds_read_b32 v54, v28 offset:6528                           // 000000004A58: D86C1980 3600001C
	ds_read_b32 v55, v28 offset:6592                           // 000000004A60: D86C19C0 3700001C
	s_waitcnt lgkmcnt(0)                                       // 000000004A68: BF8CC07F
	s_cmp_eq_u32 s24, 0                                        // 000000004A6C: BF068018
	s_cbranch_scc0 label_0823                                  // 000000004A70: BF840006
	s_mov_b32 s31, 0                                           // 000000004A74: BE9F0080

0000000000004a78 <label_081E>:
	s_load_dword s32, s[40:41], s62 glc                        // 000000004A78: C0010814 0000003E
	s_waitcnt lgkmcnt(0)                                       // 000000004A80: BF8CC07F
	s_cmp_gt_u32 s32, s31                                      // 000000004A84: BF081F20
	s_cbranch_scc0 label_081E                                  // 000000004A88: BF84FFFB

0000000000004a8c <label_0823>:
	s_barrier                                                  // 000000004A8C: BF8A0000
	s_mul_i32 s31, s30, 8                                      // 000000004A90: 921F881E
	v_mov_b32_e32 v4, v16                                      // 000000004A94: 7E080310
	global_atomic_pk_add_bf16 v4, v48, s[16:17]                // 000000004A98: DD488000 00103004
	v_add_u32_e64 v4, v4, s31                                  // 000000004AA0: D1340004 00003F04
	global_atomic_pk_add_bf16 v4, v49, s[16:17]                // 000000004AA8: DD488000 00103104
	v_add_u32_e64 v4, v4, s31                                  // 000000004AB0: D1340004 00003F04
	global_atomic_pk_add_bf16 v4, v50, s[16:17]                // 000000004AB8: DD488000 00103204
	v_add_u32_e64 v4, v4, s31                                  // 000000004AC0: D1340004 00003F04
	global_atomic_pk_add_bf16 v4, v51, s[16:17]                // 000000004AC8: DD488000 00103304
	v_add_u32_e64 v4, v4, s31                                  // 000000004AD0: D1340004 00003F04
	global_atomic_pk_add_bf16 v4, v52, s[16:17]                // 000000004AD8: DD488000 00103404
	v_add_u32_e64 v4, v4, s31                                  // 000000004AE0: D1340004 00003F04
	global_atomic_pk_add_bf16 v4, v53, s[16:17]                // 000000004AE8: DD488000 00103504
	v_add_u32_e64 v4, v4, s31                                  // 000000004AF0: D1340004 00003F04
	global_atomic_pk_add_bf16 v4, v54, s[16:17]                // 000000004AF8: DD488000 00103604
	v_add_u32_e64 v4, v4, s31                                  // 000000004B00: D1340004 00003F04
	global_atomic_pk_add_bf16 v4, v55, s[16:17]                // 000000004B08: DD488000 00103704
	v_add_u32_e64 v4, v4, s31                                  // 000000004B10: D1340004 00003F04
	s_barrier                                                  // 000000004B18: BF8A0000
	s_cmp_eq_u32 s24, 0                                        // 000000004B1C: BF068018
	s_cbranch_scc0 label_0AFC                                  // 000000004B20: BF8402B3
	s_atomic_dec s52, s[40:41], s62                            // 000000004B24: C2300D14 0000003E
	s_branch label_0AFC                                        // 000000004B2C: BF8202B0

0000000000004b30 <label_084C>:
	v_mov_b32_e32 v5, 0                                        // 000000004B30: 7E0A0280
	s_and_b32 s17, s17, 0xffff                                 // 000000004B34: 8611FF11 0000FFFF
	s_cmp_lt_u32 s54, 1                                        // 000000004B3C: BF0A8136
	s_cbranch_scc0 label_0918                                  // 000000004B40: BF8400C7
	v_lshrrev_b32_e32 v4, 4, v0                                // 000000004B44: 20080084
	v_mul_u32_u24_e32 v25, 0x44, v4                            // 000000004B48: 103208FF 00000044
	v_and_b32_e32 v4, 15, v0                                   // 000000004B50: 2608008F
	v_mul_lo_u32 v5, 4, v4                                     // 000000004B54: D2850005 00020884
	v_add_u32_e32 v25, v5, v25                                 // 000000004B5C: 68323305
	s_mul_i32 s31, s24, 0x110                                  // 000000004B60: 921FFF18 00000110
	v_add_u32_e32 v25, s31, v25                                // 000000004B68: 6832321F
	v_lshlrev_b32_e32 v25, 2, v25                              // 000000004B6C: 24323282
	v_lshrrev_b32_e32 v4, 2, v0                                // 000000004B70: 20080082
	v_mul_u32_u24_e32 v28, 0x44, v4                            // 000000004B74: 103808FF 00000044
	v_and_b32_e32 v4, 3, v0                                    // 000000004B7C: 26080083
	v_add_u32_e32 v28, v4, v28                                 // 000000004B80: 68383904
	s_mul_i32 s31, s24, 4                                      // 000000004B84: 921F8418
	v_add_u32_e32 v28, s31, v28                                // 000000004B88: 6838381F
	v_lshlrev_b32_e32 v28, 2, v28                              // 000000004B8C: 24383882
	s_lshr_b32 s31, s55, 2                                     // 000000004B90: 8F1F8237
	s_and_b32 s32, s55, 3                                      // 000000004B94: 86208337
	s_cmp_lt_u32 s24, s32                                      // 000000004B98: BF0A2018
	s_cselect_b32 s32, 1, 0                                    // 000000004B9C: 85208081
	s_add_u32 s55, s31, s32                                    // 000000004BA0: 8037201F
	s_mov_b32 s33, 0                                           // 000000004BA4: BEA10080
	s_waitcnt vmcnt(0) expcnt(0) lgkmcnt(0)                    // 000000004BA8: BF8C0000
	s_barrier                                                  // 000000004BAC: BF8A0000
	ds_write_b128 v25, v[32:35]                                // 000000004BB0: D9BE0000 00002019
	ds_write_b128 v25, v[36:39] offset:4352                    // 000000004BB8: D9BE1100 00002419
	ds_write_b128 v25, v[40:43] offset:8704                    // 000000004BC0: D9BE2200 00002819
	ds_write_b128 v25, v[44:47] offset:13056                   // 000000004BC8: D9BE3300 00002C19
	s_waitcnt lgkmcnt(0)                                       // 000000004BD0: BF8CC07F
	s_barrier                                                  // 000000004BD4: BF8A0000
	ds_read_b32 v32, v28                                       // 000000004BD8: D86C0000 2000001C
	ds_read_b32 v33, v28 offset:64                             // 000000004BE0: D86C0040 2100001C
	ds_read_b32 v34, v28 offset:128                            // 000000004BE8: D86C0080 2200001C
	ds_read_b32 v35, v28 offset:192                            // 000000004BF0: D86C00C0 2300001C
	ds_read_b32 v36, v28 offset:4352                           // 000000004BF8: D86C1100 2400001C
	ds_read_b32 v37, v28 offset:4416                           // 000000004C00: D86C1140 2500001C
	ds_read_b32 v38, v28 offset:4480                           // 000000004C08: D86C1180 2600001C
	ds_read_b32 v39, v28 offset:4544                           // 000000004C10: D86C11C0 2700001C
	ds_read_b32 v40, v28 offset:8704                           // 000000004C18: D86C2200 2800001C
	ds_read_b32 v41, v28 offset:8768                           // 000000004C20: D86C2240 2900001C
	ds_read_b32 v42, v28 offset:8832                           // 000000004C28: D86C2280 2A00001C
	ds_read_b32 v43, v28 offset:8896                           // 000000004C30: D86C22C0 2B00001C
	ds_read_b32 v44, v28 offset:13056                          // 000000004C38: D86C3300 2C00001C
	ds_read_b32 v45, v28 offset:13120                          // 000000004C40: D86C3340 2D00001C
	ds_read_b32 v46, v28 offset:13184                          // 000000004C48: D86C3380 2E00001C
	ds_read_b32 v47, v28 offset:13248                          // 000000004C50: D86C33C0 2F00001C
	s_waitcnt lgkmcnt(0)                                       // 000000004C58: BF8CC07F
	s_cmp_eq_u32 s24, 0                                        // 000000004C5C: BF068018
	s_cbranch_scc0 label_089F                                  // 000000004C60: BF840006
	s_mov_b32 s31, 0                                           // 000000004C64: BE9F0080

0000000000004c68 <label_089A>:
	s_load_dword s32, s[40:41], s62 glc                        // 000000004C68: C0010814 0000003E
	s_waitcnt lgkmcnt(0)                                       // 000000004C70: BF8CC07F
	s_cmp_gt_u32 s32, s31                                      // 000000004C74: BF081F20
	s_cbranch_scc0 label_089A                                  // 000000004C78: BF84FFFB

0000000000004c7c <label_089F>:
	s_barrier                                                  // 000000004C7C: BF8A0000
	s_mul_i32 s31, s30, 4                                      // 000000004C80: 921F841E
	v_mov_b32_e32 v4, v16                                      // 000000004C84: 7E080310
	s_cmp_lt_i32 s33, s55                                      // 000000004C88: BF043721
	s_cbranch_scc0 label_0912                                  // 000000004C8C: BF84006E
	global_atomic_add_f32 v4, v32, s[16:17]                    // 000000004C90: DD348000 00102004
	v_add_u32_e64 v4, v4, s31                                  // 000000004C98: D1340004 00003F04
	s_addk_i32 s33, 0x1                                        // 000000004CA0: B7210001
	s_cmp_lt_i32 s33, s55                                      // 000000004CA4: BF043721
	s_cbranch_scc0 label_0912                                  // 000000004CA8: BF840067
	global_atomic_add_f32 v4, v33, s[16:17]                    // 000000004CAC: DD348000 00102104
	v_add_u32_e64 v4, v4, s31                                  // 000000004CB4: D1340004 00003F04
	s_addk_i32 s33, 0x1                                        // 000000004CBC: B7210001
	s_cmp_lt_i32 s33, s55                                      // 000000004CC0: BF043721
	s_cbranch_scc0 label_0912                                  // 000000004CC4: BF840060
	global_atomic_add_f32 v4, v34, s[16:17]                    // 000000004CC8: DD348000 00102204
	v_add_u32_e64 v4, v4, s31                                  // 000000004CD0: D1340004 00003F04
	s_addk_i32 s33, 0x1                                        // 000000004CD8: B7210001
	s_cmp_lt_i32 s33, s55                                      // 000000004CDC: BF043721
	s_cbranch_scc0 label_0912                                  // 000000004CE0: BF840059
	global_atomic_add_f32 v4, v35, s[16:17]                    // 000000004CE4: DD348000 00102304
	v_add_u32_e64 v4, v4, s31                                  // 000000004CEC: D1340004 00003F04
	s_addk_i32 s33, 0x1                                        // 000000004CF4: B7210001
	s_cmp_lt_i32 s33, s55                                      // 000000004CF8: BF043721
	s_cbranch_scc0 label_0912                                  // 000000004CFC: BF840052
	global_atomic_add_f32 v4, v36, s[16:17]                    // 000000004D00: DD348000 00102404
	v_add_u32_e64 v4, v4, s31                                  // 000000004D08: D1340004 00003F04
	s_addk_i32 s33, 0x1                                        // 000000004D10: B7210001
	s_cmp_lt_i32 s33, s55                                      // 000000004D14: BF043721
	s_cbranch_scc0 label_0912                                  // 000000004D18: BF84004B
	global_atomic_add_f32 v4, v37, s[16:17]                    // 000000004D1C: DD348000 00102504
	v_add_u32_e64 v4, v4, s31                                  // 000000004D24: D1340004 00003F04
	s_addk_i32 s33, 0x1                                        // 000000004D2C: B7210001
	s_cmp_lt_i32 s33, s55                                      // 000000004D30: BF043721
	s_cbranch_scc0 label_0912                                  // 000000004D34: BF840044
	global_atomic_add_f32 v4, v38, s[16:17]                    // 000000004D38: DD348000 00102604
	v_add_u32_e64 v4, v4, s31                                  // 000000004D40: D1340004 00003F04
	s_addk_i32 s33, 0x1                                        // 000000004D48: B7210001
	s_cmp_lt_i32 s33, s55                                      // 000000004D4C: BF043721
	s_cbranch_scc0 label_0912                                  // 000000004D50: BF84003D
	global_atomic_add_f32 v4, v39, s[16:17]                    // 000000004D54: DD348000 00102704
	v_add_u32_e64 v4, v4, s31                                  // 000000004D5C: D1340004 00003F04
	s_addk_i32 s33, 0x1                                        // 000000004D64: B7210001
	s_cmp_lt_i32 s33, s55                                      // 000000004D68: BF043721
	s_cbranch_scc0 label_0912                                  // 000000004D6C: BF840036
	global_atomic_add_f32 v4, v40, s[16:17]                    // 000000004D70: DD348000 00102804
	v_add_u32_e64 v4, v4, s31                                  // 000000004D78: D1340004 00003F04
	s_addk_i32 s33, 0x1                                        // 000000004D80: B7210001
	s_cmp_lt_i32 s33, s55                                      // 000000004D84: BF043721
	s_cbranch_scc0 label_0912                                  // 000000004D88: BF84002F
	global_atomic_add_f32 v4, v41, s[16:17]                    // 000000004D8C: DD348000 00102904
	v_add_u32_e64 v4, v4, s31                                  // 000000004D94: D1340004 00003F04
	s_addk_i32 s33, 0x1                                        // 000000004D9C: B7210001
	s_cmp_lt_i32 s33, s55                                      // 000000004DA0: BF043721
	s_cbranch_scc0 label_0912                                  // 000000004DA4: BF840028
	global_atomic_add_f32 v4, v42, s[16:17]                    // 000000004DA8: DD348000 00102A04
	v_add_u32_e64 v4, v4, s31                                  // 000000004DB0: D1340004 00003F04
	s_addk_i32 s33, 0x1                                        // 000000004DB8: B7210001
	s_cmp_lt_i32 s33, s55                                      // 000000004DBC: BF043721
	s_cbranch_scc0 label_0912                                  // 000000004DC0: BF840021
	global_atomic_add_f32 v4, v43, s[16:17]                    // 000000004DC4: DD348000 00102B04
	v_add_u32_e64 v4, v4, s31                                  // 000000004DCC: D1340004 00003F04
	s_addk_i32 s33, 0x1                                        // 000000004DD4: B7210001
	s_cmp_lt_i32 s33, s55                                      // 000000004DD8: BF043721
	s_cbranch_scc0 label_0912                                  // 000000004DDC: BF84001A
	global_atomic_add_f32 v4, v44, s[16:17]                    // 000000004DE0: DD348000 00102C04
	v_add_u32_e64 v4, v4, s31                                  // 000000004DE8: D1340004 00003F04
	s_addk_i32 s33, 0x1                                        // 000000004DF0: B7210001
	s_cmp_lt_i32 s33, s55                                      // 000000004DF4: BF043721
	s_cbranch_scc0 label_0912                                  // 000000004DF8: BF840013
	global_atomic_add_f32 v4, v45, s[16:17]                    // 000000004DFC: DD348000 00102D04
	v_add_u32_e64 v4, v4, s31                                  // 000000004E04: D1340004 00003F04
	s_addk_i32 s33, 0x1                                        // 000000004E0C: B7210001
	s_cmp_lt_i32 s33, s55                                      // 000000004E10: BF043721
	s_cbranch_scc0 label_0912                                  // 000000004E14: BF84000C
	global_atomic_add_f32 v4, v46, s[16:17]                    // 000000004E18: DD348000 00102E04
	v_add_u32_e64 v4, v4, s31                                  // 000000004E20: D1340004 00003F04
	s_addk_i32 s33, 0x1                                        // 000000004E28: B7210001
	s_cmp_lt_i32 s33, s55                                      // 000000004E2C: BF043721
	s_cbranch_scc0 label_0912                                  // 000000004E30: BF840005
	global_atomic_add_f32 v4, v47, s[16:17]                    // 000000004E34: DD348000 00102F04
	v_add_u32_e64 v4, v4, s31                                  // 000000004E3C: D1340004 00003F04
	s_addk_i32 s33, 0x1                                        // 000000004E44: B7210001

0000000000004e48 <label_0912>:
	s_barrier                                                  // 000000004E48: BF8A0000
	s_cmp_eq_u32 s24, 0                                        // 000000004E4C: BF068018
	s_cbranch_scc0 label_0AFC                                  // 000000004E50: BF8401E7
	s_atomic_dec s52, s[40:41], s62                            // 000000004E54: C2300D14 0000003E
	s_branch label_0AFC                                        // 000000004E5C: BF8201E4

0000000000004e60 <label_0918>:
	v_lshrrev_b32_e32 v4, 4, v0                                // 000000004E60: 20080084
	v_mul_u32_u24_e32 v25, 34, v4                              // 000000004E64: 103208A2
	v_and_b32_e32 v4, 15, v0                                   // 000000004E68: 2608008F
	v_mul_lo_u32 v5, 2, v4                                     // 000000004E6C: D2850005 00020882
	v_add_u32_e32 v25, v5, v25                                 // 000000004E74: 68323305
	s_mul_i32 s31, s24, 0x88                                   // 000000004E78: 921FFF18 00000088
	v_add_u32_e32 v25, s31, v25                                // 000000004E80: 6832321F
	v_lshlrev_b32_e32 v25, 2, v25                              // 000000004E84: 24323282
	v_and_b32_e32 v4, 31, v0                                   // 000000004E88: 2608009F
	v_lshrrev_b32_e32 v5, 1, v4                                // 000000004E8C: 200A0881
	v_mul_u32_u24_e32 v28, 34, v5                              // 000000004E90: 10380AA2
	v_and_b32_e32 v5, 1, v4                                    // 000000004E94: 260A0881
	v_add_u32_e32 v28, v5, v28                                 // 000000004E98: 68383905
	v_lshrrev_b32_e32 v4, 5, v0                                // 000000004E9C: 20080085
	v_mul_u32_u24_e32 v4, 8, v4                                // 000000004EA0: 10080888
	v_add_u32_e32 v28, v4, v28                                 // 000000004EA4: 68383904
	s_mul_i32 s31, s24, 2                                      // 000000004EA8: 921F8218
	v_add_u32_e32 v28, s31, v28                                // 000000004EAC: 6838381F
	v_lshlrev_b32_e32 v28, 2, v28                              // 000000004EB0: 24383882
	s_lshr_b32 s31, s55, 2                                     // 000000004EB4: 8F1F8237
	s_and_b32 s32, s55, 3                                      // 000000004EB8: 86208337
	s_cmp_lt_u32 s24, s32                                      // 000000004EBC: BF0A2018
	s_cselect_b32 s32, 1, 0                                    // 000000004EC0: 85208081
	s_add_u32 s55, s31, s32                                    // 000000004EC4: 8037201F
	s_mov_b32 s33, 0                                           // 000000004EC8: BEA10080
	s_waitcnt vmcnt(0) expcnt(0) lgkmcnt(0)                    // 000000004ECC: BF8C0000
	s_barrier                                                  // 000000004ED0: BF8A0000
	v_cmp_u_f32_e64 s[60:61], v32, v32                         // 000000004ED4: D048003C 00024120
	v_add3_u32 v8, v32, v11, 1                                 // 000000004EDC: D1FF0008 02061720
	v_cndmask_b32_e64 v4, v8, v10, s[60:61]                    // 000000004EE4: D1000004 00F21508
	v_cmp_u_f32_e64 s[60:61], v33, v33                         // 000000004EEC: D048003C 00024321
	v_add3_u32 v8, v33, v11, 1                                 // 000000004EF4: D1FF0008 02061721
	v_cndmask_b32_e64 v5, v8, v10, s[60:61]                    // 000000004EFC: D1000005 00F21508
	v_perm_b32 v48, v5, v4, s35                                // 000000004F04: D1ED0030 008E0905
	v_cmp_u_f32_e64 s[60:61], v34, v34                         // 000000004F0C: D048003C 00024522
	v_add3_u32 v8, v34, v11, 1                                 // 000000004F14: D1FF0008 02061722
	v_cndmask_b32_e64 v4, v8, v10, s[60:61]                    // 000000004F1C: D1000004 00F21508
	v_cmp_u_f32_e64 s[60:61], v35, v35                         // 000000004F24: D048003C 00024723
	v_add3_u32 v8, v35, v11, 1                                 // 000000004F2C: D1FF0008 02061723
	v_cndmask_b32_e64 v5, v8, v10, s[60:61]                    // 000000004F34: D1000005 00F21508
	v_perm_b32 v49, v5, v4, s35                                // 000000004F3C: D1ED0031 008E0905
	v_cmp_u_f32_e64 s[60:61], v36, v36                         // 000000004F44: D048003C 00024924
	v_add3_u32 v8, v36, v11, 1                                 // 000000004F4C: D1FF0008 02061724
	v_cndmask_b32_e64 v4, v8, v10, s[60:61]                    // 000000004F54: D1000004 00F21508
	v_cmp_u_f32_e64 s[60:61], v37, v37                         // 000000004F5C: D048003C 00024B25
	v_add3_u32 v8, v37, v11, 1                                 // 000000004F64: D1FF0008 02061725
	v_cndmask_b32_e64 v5, v8, v10, s[60:61]                    // 000000004F6C: D1000005 00F21508
	v_perm_b32 v50, v5, v4, s35                                // 000000004F74: D1ED0032 008E0905
	v_cmp_u_f32_e64 s[60:61], v38, v38                         // 000000004F7C: D048003C 00024D26
	v_add3_u32 v8, v38, v11, 1                                 // 000000004F84: D1FF0008 02061726
	v_cndmask_b32_e64 v4, v8, v10, s[60:61]                    // 000000004F8C: D1000004 00F21508
	v_cmp_u_f32_e64 s[60:61], v39, v39                         // 000000004F94: D048003C 00024F27
	v_add3_u32 v8, v39, v11, 1                                 // 000000004F9C: D1FF0008 02061727
	v_cndmask_b32_e64 v5, v8, v10, s[60:61]                    // 000000004FA4: D1000005 00F21508
	v_perm_b32 v51, v5, v4, s35                                // 000000004FAC: D1ED0033 008E0905
	v_cmp_u_f32_e64 s[60:61], v40, v40                         // 000000004FB4: D048003C 00025128
	v_add3_u32 v8, v40, v11, 1                                 // 000000004FBC: D1FF0008 02061728
	v_cndmask_b32_e64 v4, v8, v10, s[60:61]                    // 000000004FC4: D1000004 00F21508
	v_cmp_u_f32_e64 s[60:61], v41, v41                         // 000000004FCC: D048003C 00025329
	v_add3_u32 v8, v41, v11, 1                                 // 000000004FD4: D1FF0008 02061729
	v_cndmask_b32_e64 v5, v8, v10, s[60:61]                    // 000000004FDC: D1000005 00F21508
	v_perm_b32 v52, v5, v4, s35                                // 000000004FE4: D1ED0034 008E0905
	v_cmp_u_f32_e64 s[60:61], v42, v42                         // 000000004FEC: D048003C 0002552A
	v_add3_u32 v8, v42, v11, 1                                 // 000000004FF4: D1FF0008 0206172A
	v_cndmask_b32_e64 v4, v8, v10, s[60:61]                    // 000000004FFC: D1000004 00F21508
	v_cmp_u_f32_e64 s[60:61], v43, v43                         // 000000005004: D048003C 0002572B
	v_add3_u32 v8, v43, v11, 1                                 // 00000000500C: D1FF0008 0206172B
	v_cndmask_b32_e64 v5, v8, v10, s[60:61]                    // 000000005014: D1000005 00F21508
	v_perm_b32 v53, v5, v4, s35                                // 00000000501C: D1ED0035 008E0905
	v_cmp_u_f32_e64 s[60:61], v44, v44                         // 000000005024: D048003C 0002592C
	v_add3_u32 v8, v44, v11, 1                                 // 00000000502C: D1FF0008 0206172C
	v_cndmask_b32_e64 v4, v8, v10, s[60:61]                    // 000000005034: D1000004 00F21508
	v_cmp_u_f32_e64 s[60:61], v45, v45                         // 00000000503C: D048003C 00025B2D
	v_add3_u32 v8, v45, v11, 1                                 // 000000005044: D1FF0008 0206172D
	v_cndmask_b32_e64 v5, v8, v10, s[60:61]                    // 00000000504C: D1000005 00F21508
	v_perm_b32 v54, v5, v4, s35                                // 000000005054: D1ED0036 008E0905
	v_cmp_u_f32_e64 s[60:61], v46, v46                         // 00000000505C: D048003C 00025D2E
	v_add3_u32 v8, v46, v11, 1                                 // 000000005064: D1FF0008 0206172E
	v_cndmask_b32_e64 v4, v8, v10, s[60:61]                    // 00000000506C: D1000004 00F21508
	v_cmp_u_f32_e64 s[60:61], v47, v47                         // 000000005074: D048003C 00025F2F
	v_add3_u32 v8, v47, v11, 1                                 // 00000000507C: D1FF0008 0206172F
	v_cndmask_b32_e64 v5, v8, v10, s[60:61]                    // 000000005084: D1000005 00F21508
	v_perm_b32 v55, v5, v4, s35                                // 00000000508C: D1ED0037 008E0905
	ds_write_b64 v25, v[48:49]                                 // 000000005094: D89A0000 00003019
	ds_write_b64 v25, v[50:51] offset:2176                     // 00000000509C: D89A0880 00003219
	ds_write_b64 v25, v[52:53] offset:4352                     // 0000000050A4: D89A1100 00003419
	ds_write_b64 v25, v[54:55] offset:6528                     // 0000000050AC: D89A1980 00003619
	s_waitcnt lgkmcnt(0)                                       // 0000000050B4: BF8CC07F
	s_barrier                                                  // 0000000050B8: BF8A0000
	ds_read_b32 v48, v28                                       // 0000000050BC: D86C0000 3000001C
	ds_read_b32 v49, v28 offset:64                             // 0000000050C4: D86C0040 3100001C
	ds_read_b32 v50, v28 offset:2176                           // 0000000050CC: D86C0880 3200001C
	ds_read_b32 v51, v28 offset:2240                           // 0000000050D4: D86C08C0 3300001C
	ds_read_b32 v52, v28 offset:4352                           // 0000000050DC: D86C1100 3400001C
	ds_read_b32 v53, v28 offset:4416                           // 0000000050E4: D86C1140 3500001C
	ds_read_b32 v54, v28 offset:6528                           // 0000000050EC: D86C1980 3600001C
	ds_read_b32 v55, v28 offset:6592                           // 0000000050F4: D86C19C0 3700001C
	s_waitcnt lgkmcnt(0)                                       // 0000000050FC: BF8CC07F
	s_cmp_eq_u32 s24, 0                                        // 000000005100: BF068018
	s_cbranch_scc0 label_09C8                                  // 000000005104: BF840006
	s_mov_b32 s31, 0                                           // 000000005108: BE9F0080

000000000000510c <label_09C3>:
	s_load_dword s32, s[40:41], s62 glc                        // 00000000510C: C0010814 0000003E
	s_waitcnt lgkmcnt(0)                                       // 000000005114: BF8CC07F
	s_cmp_gt_u32 s32, s31                                      // 000000005118: BF081F20
	s_cbranch_scc0 label_09C3                                  // 00000000511C: BF84FFFB

0000000000005120 <label_09C8>:
	s_barrier                                                  // 000000005120: BF8A0000
	s_mul_i32 s31, s30, 8                                      // 000000005124: 921F881E
	v_mov_b32_e32 v4, v16                                      // 000000005128: 7E080310
	s_cmp_lt_i32 s33, s55                                      // 00000000512C: BF043721
	s_cbranch_scc0 label_0A73                                  // 000000005130: BF8400A6
	s_mov_b32 s58, -1                                          // 000000005134: BEBA00C1
	s_mov_b32 s59, 0                                           // 000000005138: BEBB0080
	s_mov_b64 exec, s[58:59]                                   // 00000000513C: BEFE013A
	global_atomic_pk_add_bf16 v4, v48, s[16:17]                // 000000005140: DD488000 00103004
	s_addk_i32 s33, 0x1                                        // 000000005148: B7210001
	s_cmp_lt_i32 s33, s55                                      // 00000000514C: BF043721
	s_cbranch_scc0 label_0A73                                  // 000000005150: BF84009E
	s_mov_b32 s58, 0                                           // 000000005154: BEBA0080
	s_mov_b32 s59, -1                                          // 000000005158: BEBB00C1
	s_mov_b64 exec, s[58:59]                                   // 00000000515C: BEFE013A
	global_atomic_pk_add_bf16 v4, v48, s[16:17]                // 000000005160: DD488000 00103004
	s_addk_i32 s33, 0x1                                        // 000000005168: B7210001
	s_mov_b32 s58, -1                                          // 00000000516C: BEBA00C1
	s_mov_b32 s59, -1                                          // 000000005170: BEBB00C1
	s_mov_b64 exec, s[58:59]                                   // 000000005174: BEFE013A
	v_add_u32_e64 v4, v4, s31                                  // 000000005178: D1340004 00003F04
	s_cmp_lt_i32 s33, s55                                      // 000000005180: BF043721
	s_cbranch_scc0 label_0A73                                  // 000000005184: BF840091
	s_mov_b32 s58, -1                                          // 000000005188: BEBA00C1
	s_mov_b32 s59, 0                                           // 00000000518C: BEBB0080
	s_mov_b64 exec, s[58:59]                                   // 000000005190: BEFE013A
	global_atomic_pk_add_bf16 v4, v49, s[16:17]                // 000000005194: DD488000 00103104
	s_addk_i32 s33, 0x1                                        // 00000000519C: B7210001
	s_cmp_lt_i32 s33, s55                                      // 0000000051A0: BF043721
	s_cbranch_scc0 label_0A73                                  // 0000000051A4: BF840089
	s_mov_b32 s58, 0                                           // 0000000051A8: BEBA0080
	s_mov_b32 s59, -1                                          // 0000000051AC: BEBB00C1
	s_mov_b64 exec, s[58:59]                                   // 0000000051B0: BEFE013A
	global_atomic_pk_add_bf16 v4, v49, s[16:17]                // 0000000051B4: DD488000 00103104
	s_addk_i32 s33, 0x1                                        // 0000000051BC: B7210001
	s_mov_b32 s58, -1                                          // 0000000051C0: BEBA00C1
	s_mov_b32 s59, -1                                          // 0000000051C4: BEBB00C1
	s_mov_b64 exec, s[58:59]                                   // 0000000051C8: BEFE013A
	v_add_u32_e64 v4, v4, s31                                  // 0000000051CC: D1340004 00003F04
	s_cmp_lt_i32 s33, s55                                      // 0000000051D4: BF043721
	s_cbranch_scc0 label_0A73                                  // 0000000051D8: BF84007C
	s_mov_b32 s58, -1                                          // 0000000051DC: BEBA00C1
	s_mov_b32 s59, 0                                           // 0000000051E0: BEBB0080
	s_mov_b64 exec, s[58:59]                                   // 0000000051E4: BEFE013A
	global_atomic_pk_add_bf16 v4, v50, s[16:17]                // 0000000051E8: DD488000 00103204
	s_addk_i32 s33, 0x1                                        // 0000000051F0: B7210001
	s_cmp_lt_i32 s33, s55                                      // 0000000051F4: BF043721
	s_cbranch_scc0 label_0A73                                  // 0000000051F8: BF840074
	s_mov_b32 s58, 0                                           // 0000000051FC: BEBA0080
	s_mov_b32 s59, -1                                          // 000000005200: BEBB00C1
	s_mov_b64 exec, s[58:59]                                   // 000000005204: BEFE013A
	global_atomic_pk_add_bf16 v4, v50, s[16:17]                // 000000005208: DD488000 00103204
	s_addk_i32 s33, 0x1                                        // 000000005210: B7210001
	s_mov_b32 s58, -1                                          // 000000005214: BEBA00C1
	s_mov_b32 s59, -1                                          // 000000005218: BEBB00C1
	s_mov_b64 exec, s[58:59]                                   // 00000000521C: BEFE013A
	v_add_u32_e64 v4, v4, s31                                  // 000000005220: D1340004 00003F04
	s_cmp_lt_i32 s33, s55                                      // 000000005228: BF043721
	s_cbranch_scc0 label_0A73                                  // 00000000522C: BF840067
	s_mov_b32 s58, -1                                          // 000000005230: BEBA00C1
	s_mov_b32 s59, 0                                           // 000000005234: BEBB0080
	s_mov_b64 exec, s[58:59]                                   // 000000005238: BEFE013A
	global_atomic_pk_add_bf16 v4, v51, s[16:17]                // 00000000523C: DD488000 00103304
	s_addk_i32 s33, 0x1                                        // 000000005244: B7210001
	s_cmp_lt_i32 s33, s55                                      // 000000005248: BF043721
	s_cbranch_scc0 label_0A73                                  // 00000000524C: BF84005F
	s_mov_b32 s58, 0                                           // 000000005250: BEBA0080
	s_mov_b32 s59, -1                                          // 000000005254: BEBB00C1
	s_mov_b64 exec, s[58:59]                                   // 000000005258: BEFE013A
	global_atomic_pk_add_bf16 v4, v51, s[16:17]                // 00000000525C: DD488000 00103304
	s_addk_i32 s33, 0x1                                        // 000000005264: B7210001
	s_mov_b32 s58, -1                                          // 000000005268: BEBA00C1
	s_mov_b32 s59, -1                                          // 00000000526C: BEBB00C1
	s_mov_b64 exec, s[58:59]                                   // 000000005270: BEFE013A
	v_add_u32_e64 v4, v4, s31                                  // 000000005274: D1340004 00003F04
	s_cmp_lt_i32 s33, s55                                      // 00000000527C: BF043721
	s_cbranch_scc0 label_0A73                                  // 000000005280: BF840052
	s_mov_b32 s58, -1                                          // 000000005284: BEBA00C1
	s_mov_b32 s59, 0                                           // 000000005288: BEBB0080
	s_mov_b64 exec, s[58:59]                                   // 00000000528C: BEFE013A
	global_atomic_pk_add_bf16 v4, v52, s[16:17]                // 000000005290: DD488000 00103404
	s_addk_i32 s33, 0x1                                        // 000000005298: B7210001
	s_cmp_lt_i32 s33, s55                                      // 00000000529C: BF043721
	s_cbranch_scc0 label_0A73                                  // 0000000052A0: BF84004A
	s_mov_b32 s58, 0                                           // 0000000052A4: BEBA0080
	s_mov_b32 s59, -1                                          // 0000000052A8: BEBB00C1
	s_mov_b64 exec, s[58:59]                                   // 0000000052AC: BEFE013A
	global_atomic_pk_add_bf16 v4, v52, s[16:17]                // 0000000052B0: DD488000 00103404
	s_addk_i32 s33, 0x1                                        // 0000000052B8: B7210001
	s_mov_b32 s58, -1                                          // 0000000052BC: BEBA00C1
	s_mov_b32 s59, -1                                          // 0000000052C0: BEBB00C1
	s_mov_b64 exec, s[58:59]                                   // 0000000052C4: BEFE013A
	v_add_u32_e64 v4, v4, s31                                  // 0000000052C8: D1340004 00003F04
	s_cmp_lt_i32 s33, s55                                      // 0000000052D0: BF043721
	s_cbranch_scc0 label_0A73                                  // 0000000052D4: BF84003D
	s_mov_b32 s58, -1                                          // 0000000052D8: BEBA00C1
	s_mov_b32 s59, 0                                           // 0000000052DC: BEBB0080
	s_mov_b64 exec, s[58:59]                                   // 0000000052E0: BEFE013A
	global_atomic_pk_add_bf16 v4, v53, s[16:17]                // 0000000052E4: DD488000 00103504
	s_addk_i32 s33, 0x1                                        // 0000000052EC: B7210001
	s_cmp_lt_i32 s33, s55                                      // 0000000052F0: BF043721
	s_cbranch_scc0 label_0A73                                  // 0000000052F4: BF840035
	s_mov_b32 s58, 0                                           // 0000000052F8: BEBA0080
	s_mov_b32 s59, -1                                          // 0000000052FC: BEBB00C1
	s_mov_b64 exec, s[58:59]                                   // 000000005300: BEFE013A
	global_atomic_pk_add_bf16 v4, v53, s[16:17]                // 000000005304: DD488000 00103504
	s_addk_i32 s33, 0x1                                        // 00000000530C: B7210001
	s_mov_b32 s58, -1                                          // 000000005310: BEBA00C1
	s_mov_b32 s59, -1                                          // 000000005314: BEBB00C1
	s_mov_b64 exec, s[58:59]                                   // 000000005318: BEFE013A
	v_add_u32_e64 v4, v4, s31                                  // 00000000531C: D1340004 00003F04
	s_cmp_lt_i32 s33, s55                                      // 000000005324: BF043721
	s_cbranch_scc0 label_0A73                                  // 000000005328: BF840028
	s_mov_b32 s58, -1                                          // 00000000532C: BEBA00C1
	s_mov_b32 s59, 0                                           // 000000005330: BEBB0080
	s_mov_b64 exec, s[58:59]                                   // 000000005334: BEFE013A
	global_atomic_pk_add_bf16 v4, v54, s[16:17]                // 000000005338: DD488000 00103604
	s_addk_i32 s33, 0x1                                        // 000000005340: B7210001
	s_cmp_lt_i32 s33, s55                                      // 000000005344: BF043721
	s_cbranch_scc0 label_0A73                                  // 000000005348: BF840020
	s_mov_b32 s58, 0                                           // 00000000534C: BEBA0080
	s_mov_b32 s59, -1                                          // 000000005350: BEBB00C1
	s_mov_b64 exec, s[58:59]                                   // 000000005354: BEFE013A
	global_atomic_pk_add_bf16 v4, v54, s[16:17]                // 000000005358: DD488000 00103604
	s_addk_i32 s33, 0x1                                        // 000000005360: B7210001
	s_mov_b32 s58, -1                                          // 000000005364: BEBA00C1
	s_mov_b32 s59, -1                                          // 000000005368: BEBB00C1
	s_mov_b64 exec, s[58:59]                                   // 00000000536C: BEFE013A
	v_add_u32_e64 v4, v4, s31                                  // 000000005370: D1340004 00003F04
	s_cmp_lt_i32 s33, s55                                      // 000000005378: BF043721
	s_cbranch_scc0 label_0A73                                  // 00000000537C: BF840013
	s_mov_b32 s58, -1                                          // 000000005380: BEBA00C1
	s_mov_b32 s59, 0                                           // 000000005384: BEBB0080
	s_mov_b64 exec, s[58:59]                                   // 000000005388: BEFE013A
	global_atomic_pk_add_bf16 v4, v55, s[16:17]                // 00000000538C: DD488000 00103704
	s_addk_i32 s33, 0x1                                        // 000000005394: B7210001
	s_cmp_lt_i32 s33, s55                                      // 000000005398: BF043721
	s_cbranch_scc0 label_0A73                                  // 00000000539C: BF84000B
	s_mov_b32 s58, 0                                           // 0000000053A0: BEBA0080
	s_mov_b32 s59, -1                                          // 0000000053A4: BEBB00C1
	s_mov_b64 exec, s[58:59]                                   // 0000000053A8: BEFE013A
	global_atomic_pk_add_bf16 v4, v55, s[16:17]                // 0000000053AC: DD488000 00103704
	s_addk_i32 s33, 0x1                                        // 0000000053B4: B7210001
	s_mov_b32 s58, -1                                          // 0000000053B8: BEBA00C1
	s_mov_b32 s59, -1                                          // 0000000053BC: BEBB00C1
	s_mov_b64 exec, s[58:59]                                   // 0000000053C0: BEFE013A
	v_add_u32_e64 v4, v4, s31                                  // 0000000053C4: D1340004 00003F04

00000000000053cc <label_0A73>:
	s_barrier                                                  // 0000000053CC: BF8A0000
	s_cmp_eq_u32 s24, 0                                        // 0000000053D0: BF068018
	s_cbranch_scc0 label_0AFC                                  // 0000000053D4: BF840086
	s_atomic_dec s52, s[40:41], s62                            // 0000000053D8: C2300D14 0000003E
	s_branch label_0AFC                                        // 0000000053E0: BF820083

00000000000053e4 <label_0A79>:
	s_cmp_lt_u32 s54, 1                                        // 0000000053E4: BF0A8136
	s_cbranch_scc0 label_0A84                                  // 0000000053E8: BF840009
	buffer_store_dwordx4 v[32:35], v12, s[16:19], 0 offen      // 0000000053EC: E07C1000 8004200C
	buffer_store_dwordx4 v[36:39], v13, s[16:19], 0 offen      // 0000000053F4: E07C1000 8004240D
	buffer_store_dwordx4 v[40:43], v14, s[16:19], 0 offen      // 0000000053FC: E07C1000 8004280E
	buffer_store_dwordx4 v[44:47], v15, s[16:19], 0 offen      // 000000005404: E07C1000 80042C0F
	s_branch label_0AFC                                        // 00000000540C: BF820078

0000000000005410 <label_0A84>:
	v_cmp_u_f32_e64 s[60:61], v32, v32                         // 000000005410: D048003C 00024120
	v_add3_u32 v8, v32, v11, 1                                 // 000000005418: D1FF0008 02061720
	v_cndmask_b32_e64 v4, v8, v10, s[60:61]                    // 000000005420: D1000004 00F21508
	v_cmp_u_f32_e64 s[60:61], v33, v33                         // 000000005428: D048003C 00024321
	v_add3_u32 v8, v33, v11, 1                                 // 000000005430: D1FF0008 02061721
	v_cndmask_b32_e64 v5, v8, v10, s[60:61]                    // 000000005438: D1000005 00F21508
	v_perm_b32 v48, v5, v4, s35                                // 000000005440: D1ED0030 008E0905
	v_cmp_u_f32_e64 s[60:61], v34, v34                         // 000000005448: D048003C 00024522
	v_add3_u32 v8, v34, v11, 1                                 // 000000005450: D1FF0008 02061722
	v_cndmask_b32_e64 v4, v8, v10, s[60:61]                    // 000000005458: D1000004 00F21508
	v_cmp_u_f32_e64 s[60:61], v35, v35                         // 000000005460: D048003C 00024723
	v_add3_u32 v8, v35, v11, 1                                 // 000000005468: D1FF0008 02061723
	v_cndmask_b32_e64 v5, v8, v10, s[60:61]                    // 000000005470: D1000005 00F21508
	v_perm_b32 v49, v5, v4, s35                                // 000000005478: D1ED0031 008E0905
	buffer_store_dwordx2 v[48:49], v12, s[16:19], 0 offen      // 000000005480: E0741000 8004300C
	v_cmp_u_f32_e64 s[60:61], v36, v36                         // 000000005488: D048003C 00024924
	v_add3_u32 v8, v36, v11, 1                                 // 000000005490: D1FF0008 02061724
	v_cndmask_b32_e64 v4, v8, v10, s[60:61]                    // 000000005498: D1000004 00F21508
	v_cmp_u_f32_e64 s[60:61], v37, v37                         // 0000000054A0: D048003C 00024B25
	v_add3_u32 v8, v37, v11, 1                                 // 0000000054A8: D1FF0008 02061725
	v_cndmask_b32_e64 v5, v8, v10, s[60:61]                    // 0000000054B0: D1000005 00F21508
	v_perm_b32 v50, v5, v4, s35                                // 0000000054B8: D1ED0032 008E0905
	v_cmp_u_f32_e64 s[60:61], v38, v38                         // 0000000054C0: D048003C 00024D26
	v_add3_u32 v8, v38, v11, 1                                 // 0000000054C8: D1FF0008 02061726
	v_cndmask_b32_e64 v4, v8, v10, s[60:61]                    // 0000000054D0: D1000004 00F21508
	v_cmp_u_f32_e64 s[60:61], v39, v39                         // 0000000054D8: D048003C 00024F27
	v_add3_u32 v8, v39, v11, 1                                 // 0000000054E0: D1FF0008 02061727
	v_cndmask_b32_e64 v5, v8, v10, s[60:61]                    // 0000000054E8: D1000005 00F21508
	v_perm_b32 v51, v5, v4, s35                                // 0000000054F0: D1ED0033 008E0905
	buffer_store_dwordx2 v[50:51], v13, s[16:19], 0 offen      // 0000000054F8: E0741000 8004320D
	v_cmp_u_f32_e64 s[60:61], v40, v40                         // 000000005500: D048003C 00025128
	v_add3_u32 v8, v40, v11, 1                                 // 000000005508: D1FF0008 02061728
	v_cndmask_b32_e64 v4, v8, v10, s[60:61]                    // 000000005510: D1000004 00F21508
	v_cmp_u_f32_e64 s[60:61], v41, v41                         // 000000005518: D048003C 00025329
	v_add3_u32 v8, v41, v11, 1                                 // 000000005520: D1FF0008 02061729
	v_cndmask_b32_e64 v5, v8, v10, s[60:61]                    // 000000005528: D1000005 00F21508
	v_perm_b32 v52, v5, v4, s35                                // 000000005530: D1ED0034 008E0905
	v_cmp_u_f32_e64 s[60:61], v42, v42                         // 000000005538: D048003C 0002552A
	v_add3_u32 v8, v42, v11, 1                                 // 000000005540: D1FF0008 0206172A
	v_cndmask_b32_e64 v4, v8, v10, s[60:61]                    // 000000005548: D1000004 00F21508
	v_cmp_u_f32_e64 s[60:61], v43, v43                         // 000000005550: D048003C 0002572B
	v_add3_u32 v8, v43, v11, 1                                 // 000000005558: D1FF0008 0206172B
	v_cndmask_b32_e64 v5, v8, v10, s[60:61]                    // 000000005560: D1000005 00F21508
	v_perm_b32 v53, v5, v4, s35                                // 000000005568: D1ED0035 008E0905
	buffer_store_dwordx2 v[52:53], v14, s[16:19], 0 offen      // 000000005570: E0741000 8004340E
	v_cmp_u_f32_e64 s[60:61], v44, v44                         // 000000005578: D048003C 0002592C
	v_add3_u32 v8, v44, v11, 1                                 // 000000005580: D1FF0008 0206172C
	v_cndmask_b32_e64 v4, v8, v10, s[60:61]                    // 000000005588: D1000004 00F21508
	v_cmp_u_f32_e64 s[60:61], v45, v45                         // 000000005590: D048003C 00025B2D
	v_add3_u32 v8, v45, v11, 1                                 // 000000005598: D1FF0008 0206172D
	v_cndmask_b32_e64 v5, v8, v10, s[60:61]                    // 0000000055A0: D1000005 00F21508
	v_perm_b32 v54, v5, v4, s35                                // 0000000055A8: D1ED0036 008E0905
	v_cmp_u_f32_e64 s[60:61], v46, v46                         // 0000000055B0: D048003C 00025D2E
	v_add3_u32 v8, v46, v11, 1                                 // 0000000055B8: D1FF0008 0206172E
	v_cndmask_b32_e64 v4, v8, v10, s[60:61]                    // 0000000055C0: D1000004 00F21508
	v_cmp_u_f32_e64 s[60:61], v47, v47                         // 0000000055C8: D048003C 00025F2F
	v_add3_u32 v8, v47, v11, 1                                 // 0000000055D0: D1FF0008 0206172F
	v_cndmask_b32_e64 v5, v8, v10, s[60:61]                    // 0000000055D8: D1000005 00F21508
	v_perm_b32 v55, v5, v4, s35                                // 0000000055E0: D1ED0037 008E0905
	buffer_store_dwordx2 v[54:55], v15, s[16:19], 0 offen      // 0000000055E8: E0741000 8004360F

00000000000055f0 <label_0AFC>:
	s_waitcnt vmcnt(0) expcnt(0) lgkmcnt(0)                    // 0000000055F0: BF8C0000
	s_endpgm                                                   // 0000000055F4: BF810000
